;; amdgpu-corpus repo=ROCm/rocFFT kind=compiled arch=gfx1201 opt=O3
	.text
	.amdgcn_target "amdgcn-amd-amdhsa--gfx1201"
	.amdhsa_code_object_version 6
	.protected	fft_rtc_fwd_len1540_factors_11_2_7_5_2_wgs_154_tpt_154_halfLds_dp_op_CI_CI_sbrr_dirReg ; -- Begin function fft_rtc_fwd_len1540_factors_11_2_7_5_2_wgs_154_tpt_154_halfLds_dp_op_CI_CI_sbrr_dirReg
	.globl	fft_rtc_fwd_len1540_factors_11_2_7_5_2_wgs_154_tpt_154_halfLds_dp_op_CI_CI_sbrr_dirReg
	.p2align	8
	.type	fft_rtc_fwd_len1540_factors_11_2_7_5_2_wgs_154_tpt_154_halfLds_dp_op_CI_CI_sbrr_dirReg,@function
fft_rtc_fwd_len1540_factors_11_2_7_5_2_wgs_154_tpt_154_halfLds_dp_op_CI_CI_sbrr_dirReg: ; @fft_rtc_fwd_len1540_factors_11_2_7_5_2_wgs_154_tpt_154_halfLds_dp_op_CI_CI_sbrr_dirReg
; %bb.0:
	s_clause 0x2
	s_load_b128 s[12:15], s[0:1], 0x18
	s_load_b128 s[8:11], s[0:1], 0x0
	;; [unrolled: 1-line block ×3, first 2 shown]
	v_mul_u32_u24_e32 v1, 0x1aa, v0
	v_mov_b32_e32 v3, 0
	s_wait_kmcnt 0x0
	s_load_b64 s[18:19], s[12:13], 0x0
	s_load_b64 s[16:17], s[14:15], 0x0
	v_lshrrev_b32_e32 v1, 16, v1
	v_cmp_lt_u64_e64 s2, s[10:11], 2
	s_delay_alu instid0(VALU_DEP_2)
	v_add_nc_u32_e32 v5, ttmp9, v1
	v_mov_b32_e32 v1, 0
	v_mov_b32_e32 v2, 0
	;; [unrolled: 1-line block ×3, first 2 shown]
	s_and_b32 vcc_lo, exec_lo, s2
	s_cbranch_vccnz .LBB0_8
; %bb.1:
	s_load_b64 s[2:3], s[0:1], 0x10
	v_mov_b32_e32 v1, 0
	v_mov_b32_e32 v2, 0
	s_add_nc_u64 s[20:21], s[14:15], 8
	s_add_nc_u64 s[22:23], s[12:13], 8
	s_mov_b64 s[24:25], 1
	s_delay_alu instid0(VALU_DEP_1)
	v_dual_mov_b32 v83, v2 :: v_dual_mov_b32 v82, v1
	s_wait_kmcnt 0x0
	s_add_nc_u64 s[26:27], s[2:3], 8
	s_mov_b32 s3, 0
.LBB0_2:                                ; =>This Inner Loop Header: Depth=1
	s_load_b64 s[28:29], s[26:27], 0x0
                                        ; implicit-def: $vgpr86_vgpr87
	s_mov_b32 s2, exec_lo
	s_wait_kmcnt 0x0
	v_or_b32_e32 v4, s29, v6
	s_delay_alu instid0(VALU_DEP_1)
	v_cmpx_ne_u64_e32 0, v[3:4]
	s_wait_alu 0xfffe
	s_xor_b32 s30, exec_lo, s2
	s_cbranch_execz .LBB0_4
; %bb.3:                                ;   in Loop: Header=BB0_2 Depth=1
	s_cvt_f32_u32 s2, s28
	s_cvt_f32_u32 s31, s29
	s_sub_nc_u64 s[36:37], 0, s[28:29]
	s_wait_alu 0xfffe
	s_delay_alu instid0(SALU_CYCLE_1) | instskip(SKIP_1) | instid1(SALU_CYCLE_2)
	s_fmamk_f32 s2, s31, 0x4f800000, s2
	s_wait_alu 0xfffe
	v_s_rcp_f32 s2, s2
	s_delay_alu instid0(TRANS32_DEP_1) | instskip(SKIP_1) | instid1(SALU_CYCLE_2)
	s_mul_f32 s2, s2, 0x5f7ffffc
	s_wait_alu 0xfffe
	s_mul_f32 s31, s2, 0x2f800000
	s_wait_alu 0xfffe
	s_delay_alu instid0(SALU_CYCLE_2) | instskip(SKIP_1) | instid1(SALU_CYCLE_2)
	s_trunc_f32 s31, s31
	s_wait_alu 0xfffe
	s_fmamk_f32 s2, s31, 0xcf800000, s2
	s_cvt_u32_f32 s35, s31
	s_wait_alu 0xfffe
	s_delay_alu instid0(SALU_CYCLE_1) | instskip(SKIP_1) | instid1(SALU_CYCLE_2)
	s_cvt_u32_f32 s34, s2
	s_wait_alu 0xfffe
	s_mul_u64 s[38:39], s[36:37], s[34:35]
	s_wait_alu 0xfffe
	s_mul_hi_u32 s41, s34, s39
	s_mul_i32 s40, s34, s39
	s_mul_hi_u32 s2, s34, s38
	s_mul_i32 s33, s35, s38
	s_wait_alu 0xfffe
	s_add_nc_u64 s[40:41], s[2:3], s[40:41]
	s_mul_hi_u32 s31, s35, s38
	s_mul_hi_u32 s42, s35, s39
	s_add_co_u32 s2, s40, s33
	s_wait_alu 0xfffe
	s_add_co_ci_u32 s2, s41, s31
	s_mul_i32 s38, s35, s39
	s_add_co_ci_u32 s39, s42, 0
	s_wait_alu 0xfffe
	s_add_nc_u64 s[38:39], s[2:3], s[38:39]
	s_wait_alu 0xfffe
	v_add_co_u32 v4, s2, s34, s38
	s_delay_alu instid0(VALU_DEP_1) | instskip(SKIP_1) | instid1(VALU_DEP_1)
	s_cmp_lg_u32 s2, 0
	s_add_co_ci_u32 s35, s35, s39
	v_readfirstlane_b32 s34, v4
	s_wait_alu 0xfffe
	s_delay_alu instid0(VALU_DEP_1)
	s_mul_u64 s[36:37], s[36:37], s[34:35]
	s_wait_alu 0xfffe
	s_mul_hi_u32 s39, s34, s37
	s_mul_i32 s38, s34, s37
	s_mul_hi_u32 s2, s34, s36
	s_mul_i32 s33, s35, s36
	s_wait_alu 0xfffe
	s_add_nc_u64 s[38:39], s[2:3], s[38:39]
	s_mul_hi_u32 s31, s35, s36
	s_mul_hi_u32 s34, s35, s37
	s_wait_alu 0xfffe
	s_add_co_u32 s2, s38, s33
	s_add_co_ci_u32 s2, s39, s31
	s_mul_i32 s36, s35, s37
	s_add_co_ci_u32 s37, s34, 0
	s_wait_alu 0xfffe
	s_add_nc_u64 s[36:37], s[2:3], s[36:37]
	s_wait_alu 0xfffe
	v_add_co_u32 v4, s2, v4, s36
	s_delay_alu instid0(VALU_DEP_1) | instskip(SKIP_1) | instid1(VALU_DEP_1)
	s_cmp_lg_u32 s2, 0
	s_add_co_ci_u32 s2, s35, s37
	v_mul_hi_u32 v13, v5, v4
	s_wait_alu 0xfffe
	v_mad_co_u64_u32 v[7:8], null, v5, s2, 0
	v_mad_co_u64_u32 v[9:10], null, v6, v4, 0
	;; [unrolled: 1-line block ×3, first 2 shown]
	s_delay_alu instid0(VALU_DEP_3) | instskip(SKIP_1) | instid1(VALU_DEP_4)
	v_add_co_u32 v4, vcc_lo, v13, v7
	s_wait_alu 0xfffd
	v_add_co_ci_u32_e32 v7, vcc_lo, 0, v8, vcc_lo
	s_delay_alu instid0(VALU_DEP_2) | instskip(SKIP_1) | instid1(VALU_DEP_2)
	v_add_co_u32 v4, vcc_lo, v4, v9
	s_wait_alu 0xfffd
	v_add_co_ci_u32_e32 v4, vcc_lo, v7, v10, vcc_lo
	s_wait_alu 0xfffd
	v_add_co_ci_u32_e32 v7, vcc_lo, 0, v12, vcc_lo
	s_delay_alu instid0(VALU_DEP_2) | instskip(SKIP_1) | instid1(VALU_DEP_2)
	v_add_co_u32 v4, vcc_lo, v4, v11
	s_wait_alu 0xfffd
	v_add_co_ci_u32_e32 v9, vcc_lo, 0, v7, vcc_lo
	s_delay_alu instid0(VALU_DEP_2) | instskip(SKIP_1) | instid1(VALU_DEP_3)
	v_mul_lo_u32 v10, s29, v4
	v_mad_co_u64_u32 v[7:8], null, s28, v4, 0
	v_mul_lo_u32 v11, s28, v9
	s_delay_alu instid0(VALU_DEP_2) | instskip(NEXT) | instid1(VALU_DEP_2)
	v_sub_co_u32 v7, vcc_lo, v5, v7
	v_add3_u32 v8, v8, v11, v10
	s_delay_alu instid0(VALU_DEP_1) | instskip(SKIP_1) | instid1(VALU_DEP_1)
	v_sub_nc_u32_e32 v10, v6, v8
	s_wait_alu 0xfffd
	v_subrev_co_ci_u32_e64 v10, s2, s29, v10, vcc_lo
	v_add_co_u32 v11, s2, v4, 2
	s_wait_alu 0xf1ff
	v_add_co_ci_u32_e64 v12, s2, 0, v9, s2
	v_sub_co_u32 v13, s2, v7, s28
	v_sub_co_ci_u32_e32 v8, vcc_lo, v6, v8, vcc_lo
	s_wait_alu 0xf1ff
	v_subrev_co_ci_u32_e64 v10, s2, 0, v10, s2
	s_delay_alu instid0(VALU_DEP_3) | instskip(NEXT) | instid1(VALU_DEP_3)
	v_cmp_le_u32_e32 vcc_lo, s28, v13
	v_cmp_eq_u32_e64 s2, s29, v8
	s_wait_alu 0xfffd
	v_cndmask_b32_e64 v13, 0, -1, vcc_lo
	v_cmp_le_u32_e32 vcc_lo, s29, v10
	s_wait_alu 0xfffd
	v_cndmask_b32_e64 v14, 0, -1, vcc_lo
	v_cmp_le_u32_e32 vcc_lo, s28, v7
	;; [unrolled: 3-line block ×3, first 2 shown]
	s_wait_alu 0xfffd
	v_cndmask_b32_e64 v15, 0, -1, vcc_lo
	v_cmp_eq_u32_e32 vcc_lo, s29, v10
	s_wait_alu 0xf1ff
	s_delay_alu instid0(VALU_DEP_2)
	v_cndmask_b32_e64 v7, v15, v7, s2
	s_wait_alu 0xfffd
	v_cndmask_b32_e32 v10, v14, v13, vcc_lo
	v_add_co_u32 v13, vcc_lo, v4, 1
	s_wait_alu 0xfffd
	v_add_co_ci_u32_e32 v14, vcc_lo, 0, v9, vcc_lo
	s_delay_alu instid0(VALU_DEP_3) | instskip(SKIP_1) | instid1(VALU_DEP_2)
	v_cmp_ne_u32_e32 vcc_lo, 0, v10
	s_wait_alu 0xfffd
	v_cndmask_b32_e32 v8, v14, v12, vcc_lo
	v_cndmask_b32_e32 v10, v13, v11, vcc_lo
	v_cmp_ne_u32_e32 vcc_lo, 0, v7
	s_wait_alu 0xfffd
	s_delay_alu instid0(VALU_DEP_2)
	v_dual_cndmask_b32 v87, v9, v8 :: v_dual_cndmask_b32 v86, v4, v10
.LBB0_4:                                ;   in Loop: Header=BB0_2 Depth=1
	s_wait_alu 0xfffe
	s_and_not1_saveexec_b32 s2, s30
	s_cbranch_execz .LBB0_6
; %bb.5:                                ;   in Loop: Header=BB0_2 Depth=1
	v_cvt_f32_u32_e32 v4, s28
	s_sub_co_i32 s30, 0, s28
	v_mov_b32_e32 v87, v3
	s_delay_alu instid0(VALU_DEP_2) | instskip(NEXT) | instid1(TRANS32_DEP_1)
	v_rcp_iflag_f32_e32 v4, v4
	v_mul_f32_e32 v4, 0x4f7ffffe, v4
	s_delay_alu instid0(VALU_DEP_1) | instskip(SKIP_1) | instid1(VALU_DEP_1)
	v_cvt_u32_f32_e32 v4, v4
	s_wait_alu 0xfffe
	v_mul_lo_u32 v7, s30, v4
	s_delay_alu instid0(VALU_DEP_1) | instskip(NEXT) | instid1(VALU_DEP_1)
	v_mul_hi_u32 v7, v4, v7
	v_add_nc_u32_e32 v4, v4, v7
	s_delay_alu instid0(VALU_DEP_1) | instskip(NEXT) | instid1(VALU_DEP_1)
	v_mul_hi_u32 v4, v5, v4
	v_mul_lo_u32 v7, v4, s28
	v_add_nc_u32_e32 v8, 1, v4
	s_delay_alu instid0(VALU_DEP_2) | instskip(NEXT) | instid1(VALU_DEP_1)
	v_sub_nc_u32_e32 v7, v5, v7
	v_subrev_nc_u32_e32 v9, s28, v7
	v_cmp_le_u32_e32 vcc_lo, s28, v7
	s_wait_alu 0xfffd
	s_delay_alu instid0(VALU_DEP_2) | instskip(NEXT) | instid1(VALU_DEP_1)
	v_dual_cndmask_b32 v7, v7, v9 :: v_dual_cndmask_b32 v4, v4, v8
	v_cmp_le_u32_e32 vcc_lo, s28, v7
	s_delay_alu instid0(VALU_DEP_2) | instskip(SKIP_1) | instid1(VALU_DEP_1)
	v_add_nc_u32_e32 v8, 1, v4
	s_wait_alu 0xfffd
	v_cndmask_b32_e32 v86, v4, v8, vcc_lo
.LBB0_6:                                ;   in Loop: Header=BB0_2 Depth=1
	s_wait_alu 0xfffe
	s_or_b32 exec_lo, exec_lo, s2
	v_mul_lo_u32 v4, v87, s28
	s_delay_alu instid0(VALU_DEP_2)
	v_mul_lo_u32 v9, v86, s29
	s_load_b64 s[30:31], s[22:23], 0x0
	v_mad_co_u64_u32 v[7:8], null, v86, s28, 0
	s_load_b64 s[28:29], s[20:21], 0x0
	s_add_nc_u64 s[24:25], s[24:25], 1
	s_add_nc_u64 s[20:21], s[20:21], 8
	s_wait_alu 0xfffe
	v_cmp_ge_u64_e64 s2, s[24:25], s[10:11]
	s_add_nc_u64 s[22:23], s[22:23], 8
	s_add_nc_u64 s[26:27], s[26:27], 8
	v_add3_u32 v4, v8, v9, v4
	v_sub_co_u32 v5, vcc_lo, v5, v7
	s_wait_alu 0xfffd
	s_delay_alu instid0(VALU_DEP_2) | instskip(SKIP_2) | instid1(VALU_DEP_1)
	v_sub_co_ci_u32_e32 v4, vcc_lo, v6, v4, vcc_lo
	s_and_b32 vcc_lo, exec_lo, s2
	s_wait_kmcnt 0x0
	v_mul_lo_u32 v6, s30, v4
	v_mul_lo_u32 v7, s31, v5
	v_mad_co_u64_u32 v[1:2], null, s30, v5, v[1:2]
	v_mul_lo_u32 v4, s28, v4
	v_mul_lo_u32 v8, s29, v5
	v_mad_co_u64_u32 v[82:83], null, s28, v5, v[82:83]
	s_delay_alu instid0(VALU_DEP_4) | instskip(NEXT) | instid1(VALU_DEP_2)
	v_add3_u32 v2, v7, v2, v6
	v_add3_u32 v83, v8, v83, v4
	s_wait_alu 0xfffe
	s_cbranch_vccnz .LBB0_9
; %bb.7:                                ;   in Loop: Header=BB0_2 Depth=1
	v_dual_mov_b32 v5, v86 :: v_dual_mov_b32 v6, v87
	s_branch .LBB0_2
.LBB0_8:
	s_delay_alu instid0(VALU_DEP_2) | instskip(NEXT) | instid1(VALU_DEP_2)
	v_dual_mov_b32 v83, v2 :: v_dual_mov_b32 v82, v1
	v_dual_mov_b32 v87, v6 :: v_dual_mov_b32 v86, v5
.LBB0_9:
	s_load_b64 s[0:1], s[0:1], 0x28
	v_mul_hi_u32 v3, 0x1a98ef7, v0
	s_lshl_b64 s[2:3], s[10:11], 3
                                        ; implicit-def: $vgpr12_vgpr13
                                        ; implicit-def: $vgpr16_vgpr17
                                        ; implicit-def: $vgpr20_vgpr21
                                        ; implicit-def: $vgpr24_vgpr25
                                        ; implicit-def: $vgpr28_vgpr29
                                        ; implicit-def: $vgpr36_vgpr37
                                        ; implicit-def: $vgpr48_vgpr49
                                        ; implicit-def: $vgpr40_vgpr41
                                        ; implicit-def: $vgpr44_vgpr45
                                        ; implicit-def: $vgpr32_vgpr33
                                        ; implicit-def: $vgpr8_vgpr9
	s_delay_alu instid0(VALU_DEP_1) | instskip(NEXT) | instid1(VALU_DEP_1)
	v_mul_u32_u24_e32 v3, 0x9a, v3
	v_sub_nc_u32_e32 v84, v0, v3
	s_wait_kmcnt 0x0
	v_cmp_gt_u64_e32 vcc_lo, s[0:1], v[86:87]
	s_delay_alu instid0(VALU_DEP_2) | instskip(NEXT) | instid1(VALU_DEP_1)
	v_cmp_gt_u32_e64 s0, 0x8c, v84
	s_and_b32 s1, vcc_lo, s0
	s_wait_alu 0xfffe
	s_and_saveexec_b32 s20, s1
	s_cbranch_execz .LBB0_11
; %bb.10:
	s_add_nc_u64 s[10:11], s[12:13], s[2:3]
	v_mad_co_u64_u32 v[3:4], null, s18, v84, 0
	s_load_b64 s[10:11], s[10:11], 0x0
	v_add_nc_u32_e32 v17, 0x8c, v84
	s_delay_alu instid0(VALU_DEP_2) | instskip(NEXT) | instid1(VALU_DEP_2)
	v_dual_mov_b32 v0, v4 :: v_dual_add_nc_u32 v23, 0x578, v84
	v_mad_co_u64_u32 v[5:6], null, s18, v17, 0
	v_add_nc_u32_e32 v19, 0x1a4, v84
	s_delay_alu instid0(VALU_DEP_3) | instskip(SKIP_1) | instid1(VALU_DEP_4)
	v_mad_co_u64_u32 v[14:15], null, s19, v84, v[0:1]
	v_lshlrev_b64_e32 v[0:1], 4, v[1:2]
	v_mov_b32_e32 v2, v6
	s_delay_alu instid0(VALU_DEP_4)
	v_mad_co_u64_u32 v[12:13], null, s18, v19, 0
	v_add_nc_u32_e32 v18, 0x118, v84
	s_wait_kmcnt 0x0
	v_mul_lo_u32 v4, s11, v86
	v_mul_lo_u32 v9, s10, v87
	v_mad_co_u64_u32 v[7:8], null, s10, v86, 0
	s_delay_alu instid0(VALU_DEP_1) | instskip(SKIP_3) | instid1(VALU_DEP_4)
	v_add3_u32 v8, v8, v9, v4
	v_mov_b32_e32 v9, v13
	v_mad_co_u64_u32 v[10:11], null, s18, v18, 0
	v_mov_b32_e32 v4, v14
	v_lshlrev_b64_e32 v[7:8], 4, v[7:8]
	v_mad_co_u64_u32 v[13:14], null, s19, v17, v[2:3]
	v_add_nc_u32_e32 v14, 0x2bc, v84
	s_delay_alu instid0(VALU_DEP_4) | instskip(SKIP_2) | instid1(VALU_DEP_2)
	v_lshlrev_b64_e32 v[2:3], 4, v[3:4]
	v_mov_b32_e32 v6, v11
	v_add_co_u32 v4, s1, s4, v7
	v_mad_co_u64_u32 v[17:18], null, s19, v18, v[6:7]
	s_wait_alu 0xf1ff
	v_add_co_ci_u32_e64 v7, s1, s5, v8, s1
	v_mov_b32_e32 v6, v13
	v_add_co_u32 v21, s1, v4, v0
	s_wait_alu 0xf1ff
	s_delay_alu instid0(VALU_DEP_3) | instskip(NEXT) | instid1(VALU_DEP_3)
	v_add_co_ci_u32_e64 v22, s1, v7, v1, s1
	v_lshlrev_b64_e32 v[0:1], 4, v[5:6]
	s_delay_alu instid0(VALU_DEP_3) | instskip(SKIP_1) | instid1(VALU_DEP_3)
	v_add_co_u32 v2, s1, v21, v2
	s_wait_alu 0xf1ff
	v_add_co_ci_u32_e64 v3, s1, v22, v3, s1
	v_mad_co_u64_u32 v[4:5], null, s19, v19, v[9:10]
	s_delay_alu instid0(VALU_DEP_4)
	v_add_co_u32 v0, s1, v21, v0
	s_wait_alu 0xf1ff
	v_add_co_ci_u32_e64 v1, s1, v22, v1, s1
	s_clause 0x1
	global_load_b128 v[6:9], v[2:3], off
	global_load_b128 v[30:33], v[0:1], off
	v_dual_mov_b32 v13, v4 :: v_dual_add_nc_u32 v20, 0x230, v84
	v_mov_b32_e32 v11, v17
	v_mad_co_u64_u32 v[17:18], null, s18, v14, 0
	v_add_nc_u32_e32 v19, 0x460, v84
	s_delay_alu instid0(VALU_DEP_4) | instskip(NEXT) | instid1(VALU_DEP_4)
	v_mad_co_u64_u32 v[15:16], null, s18, v20, 0
	v_lshlrev_b64_e32 v[0:1], 4, v[10:11]
	s_delay_alu instid0(VALU_DEP_2) | instskip(NEXT) | instid1(VALU_DEP_2)
	v_mov_b32_e32 v5, v16
	v_add_co_u32 v0, s1, v21, v0
	s_wait_alu 0xf1ff
	s_delay_alu instid0(VALU_DEP_3) | instskip(SKIP_4) | instid1(VALU_DEP_3)
	v_add_co_ci_u32_e64 v1, s1, v22, v1, s1
	s_wait_loadcnt 0x1
	v_mad_co_u64_u32 v[2:3], null, s19, v20, v[5:6]
	v_lshlrev_b64_e32 v[4:5], 4, v[12:13]
	v_dual_mov_b32 v3, v18 :: v_dual_add_nc_u32 v20, 0x4ec, v84
	v_mov_b32_e32 v16, v2
	s_delay_alu instid0(VALU_DEP_2)
	v_mad_co_u64_u32 v[2:3], null, s19, v14, v[3:4]
	v_add_co_u32 v3, s1, v21, v4
	s_wait_alu 0xf1ff
	v_add_co_ci_u32_e64 v4, s1, v22, v5, s1
	v_lshlrev_b64_e32 v[10:11], 4, v[15:16]
	s_clause 0x1
	global_load_b128 v[42:45], v[0:1], off
	global_load_b128 v[38:41], v[3:4], off
	v_mov_b32_e32 v18, v2
	v_add_co_u32 v0, s1, v21, v10
	s_delay_alu instid0(VALU_DEP_2)
	v_lshlrev_b64_e32 v[3:4], 4, v[17:18]
	v_mad_co_u64_u32 v[16:17], null, s18, v19, 0
	v_add_nc_u32_e32 v14, 0x348, v84
	v_add_nc_u32_e32 v18, 0x3d4, v84
	s_wait_alu 0xf1ff
	v_add_co_ci_u32_e64 v1, s1, v22, v11, s1
	s_delay_alu instid0(VALU_DEP_4) | instskip(SKIP_1) | instid1(VALU_DEP_1)
	v_mov_b32_e32 v5, v17
	v_mad_co_u64_u32 v[12:13], null, s18, v14, 0
	v_mov_b32_e32 v2, v13
	s_delay_alu instid0(VALU_DEP_1) | instskip(SKIP_4) | instid1(VALU_DEP_4)
	v_mad_co_u64_u32 v[10:11], null, s19, v14, v[2:3]
	v_mad_co_u64_u32 v[14:15], null, s18, v18, 0
	v_add_co_u32 v2, s1, v21, v3
	s_wait_alu 0xf1ff
	v_add_co_ci_u32_e64 v3, s1, v22, v4, s1
	v_mov_b32_e32 v13, v10
	v_mad_co_u64_u32 v[10:11], null, s18, v20, 0
	v_mov_b32_e32 v4, v15
	s_clause 0x1
	global_load_b128 v[46:49], v[0:1], off
	global_load_b128 v[34:37], v[2:3], off
	v_lshlrev_b64_e32 v[1:2], 4, v[12:13]
	v_mad_co_u64_u32 v[17:18], null, s19, v18, v[4:5]
	v_mad_co_u64_u32 v[4:5], null, s19, v19, v[5:6]
	;; [unrolled: 1-line block ×3, first 2 shown]
	s_delay_alu instid0(VALU_DEP_3) | instskip(NEXT) | instid1(VALU_DEP_3)
	v_dual_mov_b32 v0, v11 :: v_dual_mov_b32 v15, v17
	v_mov_b32_e32 v17, v4
	s_delay_alu instid0(VALU_DEP_2) | instskip(NEXT) | instid1(VALU_DEP_4)
	v_mad_co_u64_u32 v[3:4], null, s19, v20, v[0:1]
	v_mov_b32_e32 v0, v19
	v_add_co_u32 v1, s1, v21, v1
	v_lshlrev_b64_e32 v[4:5], 4, v[14:15]
	s_wait_alu 0xf1ff
	v_add_co_ci_u32_e64 v2, s1, v22, v2, s1
	s_delay_alu instid0(VALU_DEP_3)
	v_mad_co_u64_u32 v[12:13], null, s19, v23, v[0:1]
	v_lshlrev_b64_e32 v[13:14], 4, v[16:17]
	v_mov_b32_e32 v11, v3
	v_add_co_u32 v3, s1, v21, v4
	s_wait_alu 0xf1ff
	v_add_co_ci_u32_e64 v4, s1, v22, v5, s1
	v_mov_b32_e32 v19, v12
	v_lshlrev_b64_e32 v[10:11], 4, v[10:11]
	v_add_co_u32 v12, s1, v21, v13
	s_wait_alu 0xf1ff
	v_add_co_ci_u32_e64 v13, s1, v22, v14, s1
	v_lshlrev_b64_e32 v[14:15], 4, v[18:19]
	s_delay_alu instid0(VALU_DEP_4) | instskip(SKIP_2) | instid1(VALU_DEP_3)
	v_add_co_u32 v10, s1, v21, v10
	s_wait_alu 0xf1ff
	v_add_co_ci_u32_e64 v11, s1, v22, v11, s1
	v_add_co_u32 v50, s1, v21, v14
	s_wait_alu 0xf1ff
	v_add_co_ci_u32_e64 v51, s1, v22, v15, s1
	s_clause 0x4
	global_load_b128 v[26:29], v[1:2], off
	global_load_b128 v[22:25], v[3:4], off
	;; [unrolled: 1-line block ×5, first 2 shown]
.LBB0_11:
	s_or_b32 exec_lo, exec_lo, s20
	s_wait_loadcnt 0x0
	v_add_f64_e32 v[56:57], v[10:11], v[30:31]
	s_mov_b32 s20, 0x8764f0ba
	s_mov_b32 s21, 0x3feaeb8c
	v_add_f64_e64 v[66:67], v[32:33], -v[12:13]
	v_add_f64_e32 v[54:55], v[14:15], v[42:43]
	s_mov_b32 s22, 0xf8bb580b
	s_mov_b32 s18, 0xd9c712b6
	s_mov_b32 s23, 0xbfe14ced
	s_mov_b32 s19, 0x3fda9628
	v_add_f64_e64 v[72:73], v[44:45], -v[16:17]
	v_add_f64_e32 v[50:51], v[18:19], v[38:39]
	s_mov_b32 s24, 0x8eee2c13
	s_mov_b32 s12, 0x640f44db
	;; [unrolled: 6-line block ×3, first 2 shown]
	s_mov_b32 s27, 0xbfefac9e
	s_mov_b32 s11, 0xbfe4f49e
	v_add_f64_e64 v[70:71], v[48:49], -v[24:25]
	s_mov_b32 s28, 0xbb3a28a1
	s_mov_b32 s4, 0x9bcd5057
	;; [unrolled: 1-line block ×4, first 2 shown]
	v_add_f64_e64 v[60:61], v[36:37], -v[28:29]
	s_mov_b32 s30, 0xfd768dbf
	s_mov_b32 s31, 0xbfd207e7
	v_mul_f64_e32 v[62:63], s[20:21], v[56:57]
	s_wait_alu 0xfffe
	v_mul_f64_e32 v[68:69], s[18:19], v[54:55]
	v_mul_f64_e32 v[64:65], s[12:13], v[50:51]
	;; [unrolled: 1-line block ×3, first 2 shown]
	s_delay_alu instid0(VALU_DEP_4) | instskip(NEXT) | instid1(VALU_DEP_4)
	v_fma_f64 v[2:3], v[66:67], s[22:23], v[62:63]
	v_fma_f64 v[4:5], v[72:73], s[24:25], v[68:69]
	s_delay_alu instid0(VALU_DEP_4) | instskip(NEXT) | instid1(VALU_DEP_4)
	v_fma_f64 v[52:53], v[74:75], s[26:27], v[64:65]
	v_fma_f64 v[76:77], v[70:71], s[28:29], v[58:59]
	s_delay_alu instid0(VALU_DEP_4) | instskip(NEXT) | instid1(VALU_DEP_1)
	v_add_f64_e32 v[2:3], v[6:7], v[2:3]
	v_add_f64_e32 v[2:3], v[4:5], v[2:3]
	;; [unrolled: 1-line block ×3, first 2 shown]
	s_delay_alu instid0(VALU_DEP_2) | instskip(NEXT) | instid1(VALU_DEP_2)
	v_add_f64_e32 v[2:3], v[52:53], v[2:3]
	v_mul_f64_e32 v[52:53], s[4:5], v[4:5]
	s_delay_alu instid0(VALU_DEP_2) | instskip(NEXT) | instid1(VALU_DEP_2)
	v_add_f64_e32 v[2:3], v[76:77], v[2:3]
	v_fma_f64 v[76:77], v[60:61], s[30:31], v[52:53]
	s_delay_alu instid0(VALU_DEP_1)
	v_add_f64_e32 v[2:3], v[76:77], v[2:3]
	s_and_saveexec_b32 s1, s0
	s_cbranch_execz .LBB0_13
; %bb.12:
	v_add_f64_e32 v[76:77], v[30:31], v[6:7]
	v_mul_f64_e32 v[78:79], s[30:31], v[66:67]
	v_mul_f64_e32 v[80:81], s[28:29], v[66:67]
	;; [unrolled: 1-line block ×5, first 2 shown]
	s_mov_b32 s35, 0x3fe14ced
	s_mov_b32 s34, s22
	;; [unrolled: 1-line block ×6, first 2 shown]
	v_mul_f64_e32 v[92:93], s[28:29], v[72:73]
	v_mul_f64_e32 v[94:95], s[24:25], v[72:73]
	s_wait_alu 0xfffe
	v_mul_f64_e32 v[96:97], s[34:35], v[72:73]
	v_mul_f64_e32 v[98:99], s[36:37], v[72:73]
	;; [unrolled: 1-line block ×3, first 2 shown]
	s_mov_b32 s41, 0x3fed1bb4
	s_mov_b32 s40, s24
	v_mul_f64_e32 v[106:107], s[28:29], v[74:75]
	v_mul_f64_e32 v[108:109], s[22:23], v[74:75]
	;; [unrolled: 1-line block ×5, first 2 shown]
	v_add_f64_e32 v[76:77], v[42:43], v[76:77]
	v_fma_f64 v[100:101], v[56:57], s[4:5], v[78:79]
	v_fma_f64 v[78:79], v[56:57], s[4:5], -v[78:79]
	v_fma_f64 v[102:103], v[56:57], s[10:11], v[80:81]
	v_fma_f64 v[80:81], v[56:57], s[10:11], -v[80:81]
	;; [unrolled: 2-line block ×3, first 2 shown]
	v_add_f64_e64 v[62:63], v[62:63], -v[90:91]
	v_fma_f64 v[90:91], v[56:57], s[18:19], -v[66:67]
	v_fma_f64 v[56:57], v[56:57], s[18:19], v[66:67]
	v_mul_f64_e32 v[66:67], s[26:27], v[74:75]
	v_mul_f64_e32 v[74:75], s[38:39], v[74:75]
	v_fma_f64 v[112:113], v[54:55], s[10:11], v[92:93]
	v_fma_f64 v[92:93], v[54:55], s[10:11], -v[92:93]
	v_add_f64_e64 v[68:69], v[68:69], -v[94:95]
	v_fma_f64 v[94:95], v[54:55], s[20:21], v[96:97]
	v_fma_f64 v[96:97], v[54:55], s[20:21], -v[96:97]
	v_fma_f64 v[114:115], v[54:55], s[12:13], v[98:99]
	v_fma_f64 v[98:99], v[54:55], s[12:13], -v[98:99]
	;; [unrolled: 2-line block ×5, first 2 shown]
	v_add_f64_e32 v[76:77], v[38:39], v[76:77]
	v_add_f64_e32 v[72:73], v[6:7], v[100:101]
	;; [unrolled: 1-line block ×10, first 2 shown]
	v_mul_f64_e32 v[56:57], s[28:29], v[70:71]
	v_mul_f64_e32 v[104:105], s[30:31], v[70:71]
	;; [unrolled: 1-line block ×3, first 2 shown]
	v_add_f64_e64 v[64:65], v[64:65], -v[66:67]
	v_fma_f64 v[66:67], v[50:51], s[10:11], v[106:107]
	v_fma_f64 v[106:107], v[50:51], s[10:11], -v[106:107]
	v_fma_f64 v[126:127], v[50:51], s[4:5], v[74:75]
	v_fma_f64 v[50:51], v[50:51], s[4:5], -v[74:75]
	v_add_f64_e32 v[76:77], v[46:47], v[76:77]
	v_add_f64_e32 v[72:73], v[94:95], v[72:73]
	;; [unrolled: 1-line block ×10, first 2 shown]
	v_mul_f64_e32 v[88:89], s[26:27], v[60:61]
	v_mul_f64_e32 v[90:91], s[28:29], v[60:61]
	;; [unrolled: 1-line block ×5, first 2 shown]
	v_add_f64_e64 v[56:57], v[58:59], -v[56:57]
	v_fma_f64 v[58:59], v[0:1], s[4:5], v[104:105]
	v_fma_f64 v[98:99], v[0:1], s[4:5], -v[104:105]
	v_fma_f64 v[100:101], v[0:1], s[20:21], v[118:119]
	v_fma_f64 v[102:103], v[0:1], s[20:21], -v[118:119]
	;; [unrolled: 2-line block ×4, first 2 shown]
	v_add_f64_e32 v[76:77], v[34:35], v[76:77]
	v_add_f64_e32 v[66:67], v[66:67], v[72:73]
	;; [unrolled: 1-line block ×10, first 2 shown]
	v_fma_f64 v[68:69], v[4:5], s[12:13], v[88:89]
	v_fma_f64 v[80:81], v[4:5], s[10:11], v[90:91]
	v_add_f64_e64 v[52:53], v[52:53], -v[92:93]
	v_fma_f64 v[92:93], v[4:5], s[18:19], -v[96:97]
	v_fma_f64 v[94:95], v[4:5], s[20:21], v[60:61]
	v_add_f64_e32 v[76:77], v[26:27], v[76:77]
	v_add_f64_e32 v[58:59], v[58:59], v[72:73]
	v_add_f64_e32 v[72:73], v[100:101], v[78:79]
	v_add_f64_e32 v[54:55], v[102:103], v[54:55]
	v_add_f64_e32 v[56:57], v[56:57], v[62:63]
	v_add_f64_e32 v[0:1], v[0:1], v[50:51]
	v_add_f64_e32 v[6:7], v[114:115], v[6:7]
	v_add_f64_e32 v[76:77], v[22:23], v[76:77]
	s_delay_alu instid0(VALU_DEP_4) | instskip(NEXT) | instid1(VALU_DEP_3)
	v_add_f64_e32 v[52:53], v[52:53], v[56:57]
	v_add_f64_e32 v[6:7], v[94:95], v[6:7]
	s_delay_alu instid0(VALU_DEP_3)
	v_add_f64_e32 v[64:65], v[18:19], v[76:77]
	v_fma_f64 v[76:77], v[4:5], s[12:13], -v[88:89]
	v_fma_f64 v[88:89], v[4:5], s[10:11], -v[90:91]
	v_fma_f64 v[90:91], v[4:5], s[18:19], v[96:97]
	v_fma_f64 v[4:5], v[4:5], s[20:21], -v[60:61]
	v_add_f64_e32 v[60:61], v[104:105], v[66:67]
	v_add_f64_e32 v[66:67], v[112:113], v[70:71]
	;; [unrolled: 1-line block ×12, first 2 shown]
	v_mad_u32_u24 v50, 0x58, v84, 0
	ds_store_2addr_b64 v50, v[64:65], v[62:63] offset0:4 offset1:5
	ds_store_2addr_b64 v50, v[60:61], v[58:59] offset0:6 offset1:7
	;; [unrolled: 1-line block ×3, first 2 shown]
	ds_store_2addr_b64 v50, v[4:5], v[52:53] offset1:1
	ds_store_2addr_b64 v50, v[66:67], v[6:7] offset0:8 offset1:9
	ds_store_b64 v50, v[2:3] offset:80
.LBB0_13:
	s_wait_alu 0xfffe
	s_or_b32 exec_lo, exec_lo, s1
	v_add_f64_e64 v[80:81], v[30:31], -v[10:11]
	v_add_f64_e32 v[74:75], v[12:13], v[32:33]
	v_add_f64_e64 v[78:79], v[42:43], -v[14:15]
	v_add_f64_e32 v[42:43], v[16:17], v[44:45]
	;; [unrolled: 2-line block ×4, first 2 shown]
	v_add_f64_e64 v[18:19], v[34:35], -v[26:27]
	v_lshl_add_u32 v88, v84, 3, 0
	global_wb scope:SCOPE_SE
	s_wait_dscnt 0x0
	s_barrier_signal -1
	s_barrier_wait -1
	global_inv scope:SCOPE_SE
	v_add_nc_u32_e32 v34, 0x1c00, v88
	v_add_nc_u32_e32 v35, 0x2400, v88
	s_add_nc_u64 s[2:3], s[14:15], s[2:3]
	v_mul_f64_e32 v[76:77], s[22:23], v[80:81]
	v_mul_f64_e32 v[70:71], s[24:25], v[78:79]
	;; [unrolled: 1-line block ×4, first 2 shown]
	s_delay_alu instid0(VALU_DEP_4) | instskip(NEXT) | instid1(VALU_DEP_4)
	v_fma_f64 v[0:1], v[74:75], s[20:21], -v[76:77]
	v_fma_f64 v[6:7], v[42:43], s[18:19], -v[70:71]
	s_delay_alu instid0(VALU_DEP_4) | instskip(NEXT) | instid1(VALU_DEP_4)
	v_fma_f64 v[10:11], v[30:31], s[12:13], -v[22:23]
	v_fma_f64 v[26:27], v[4:5], s[10:11], -v[14:15]
	s_delay_alu instid0(VALU_DEP_4) | instskip(NEXT) | instid1(VALU_DEP_1)
	v_add_f64_e32 v[0:1], v[8:9], v[0:1]
	v_add_f64_e32 v[6:7], v[6:7], v[0:1]
	;; [unrolled: 1-line block ×3, first 2 shown]
	s_delay_alu instid0(VALU_DEP_2) | instskip(SKIP_1) | instid1(VALU_DEP_2)
	v_add_f64_e32 v[6:7], v[10:11], v[6:7]
	v_mul_f64_e32 v[10:11], s[30:31], v[18:19]
	v_add_f64_e32 v[6:7], v[26:27], v[6:7]
	s_delay_alu instid0(VALU_DEP_2) | instskip(NEXT) | instid1(VALU_DEP_1)
	v_fma_f64 v[26:27], v[0:1], s[4:5], -v[10:11]
	v_add_f64_e32 v[6:7], v[26:27], v[6:7]
	v_add_nc_u32_e32 v27, 0x1200, v88
	v_add_nc_u32_e32 v26, 0x800, v88
	ds_load_2addr_b64 v[62:65], v88 offset1:154
	ds_load_2addr_b64 v[58:61], v27 offset0:40 offset1:194
	ds_load_2addr_b64 v[54:57], v34 offset0:28 offset1:182
	;; [unrolled: 1-line block ×4, first 2 shown]
	global_wb scope:SCOPE_SE
	s_wait_dscnt 0x0
	s_barrier_signal -1
	s_barrier_wait -1
	global_inv scope:SCOPE_SE
	s_and_saveexec_b32 s33, s0
	s_cbranch_execz .LBB0_15
; %bb.14:
	v_add_f64_e32 v[32:33], v[32:33], v[8:9]
	s_mov_b32 s22, 0xbb3a28a1
	s_mov_b32 s28, 0xfd768dbf
	;; [unrolled: 1-line block ×6, first 2 shown]
	s_wait_alu 0xfffe
	v_mul_f64_e32 v[46:47], s[22:23], v[80:81]
	v_mul_f64_e32 v[89:90], s[28:29], v[80:81]
	s_mov_b32 s24, 0x43842ef
	s_mov_b32 s25, 0xbfefac9e
	;; [unrolled: 1-line block ×10, first 2 shown]
	s_wait_alu 0xfffe
	s_mov_b32 s34, s24
	s_mov_b32 s27, 0xbfeeb42a
	v_mul_f64_e32 v[91:92], s[22:23], v[78:79]
	v_mul_f64_e32 v[93:94], s[30:31], v[78:79]
	v_mul_f64_e32 v[95:96], s[36:37], v[78:79]
	s_wait_alu 0xfffe
	v_mul_f64_e32 v[78:79], s[34:35], v[78:79]
	s_mov_b32 s39, 0xbfe14ced
	s_mov_b32 s38, s30
	v_mul_f64_e32 v[101:102], s[22:23], v[72:73]
	v_mul_f64_e32 v[103:104], s[36:37], v[72:73]
	s_wait_alu 0xfffe
	v_mul_f64_e32 v[113:114], s[38:39], v[38:39]
	v_add_f64_e32 v[32:33], v[44:45], v[32:33]
	v_mul_f64_e32 v[44:45], s[0:1], v[80:81]
	s_mov_b32 s1, 0x3fed1bb4
	s_wait_alu 0xfffe
	v_mul_f64_e32 v[105:106], s[0:1], v[72:73]
	v_mul_f64_e32 v[72:73], s[38:39], v[72:73]
	v_fma_f64 v[99:100], v[74:75], s[26:27], v[89:90]
	v_fma_f64 v[89:90], v[74:75], s[26:27], -v[89:90]
	v_fma_f64 v[109:110], v[42:43], s[26:27], v[95:96]
	v_fma_f64 v[95:96], v[42:43], s[26:27], -v[95:96]
	;; [unrolled: 2-line block ×3, first 2 shown]
	v_add_f64_e32 v[32:33], v[40:41], v[32:33]
	v_mul_f64_e32 v[40:41], s[20:21], v[74:75]
	s_mov_b32 s20, 0x7f775887
	s_mov_b32 s21, 0xbfe4f49e
	v_fma_f64 v[117:118], v[30:31], s[14:15], v[105:106]
	s_wait_alu 0xfffe
	v_fma_f64 v[97:98], v[74:75], s[20:21], v[46:47]
	v_fma_f64 v[46:47], v[74:75], s[20:21], -v[46:47]
	v_fma_f64 v[105:106], v[30:31], s[14:15], -v[105:106]
	v_add_f64_e32 v[89:90], v[8:9], v[89:90]
	v_add_f64_e32 v[32:33], v[48:49], v[32:33]
	v_mul_f64_e32 v[48:49], s[24:25], v[80:81]
	v_mul_f64_e32 v[80:81], s[18:19], v[42:43]
	s_mov_b32 s18, 0x640f44db
	v_add_f64_e32 v[40:41], v[40:41], v[76:77]
	v_fma_f64 v[76:77], v[74:75], s[14:15], v[44:45]
	v_fma_f64 v[44:45], v[74:75], s[14:15], -v[44:45]
	s_mov_b32 s19, 0xbfc2375f
	v_add_f64_e32 v[46:47], v[8:9], v[46:47]
	s_wait_alu 0xfffe
	v_fma_f64 v[111:112], v[42:43], s[18:19], v[78:79]
	v_add_f64_e32 v[32:33], v[36:37], v[32:33]
	v_fma_f64 v[36:37], v[74:75], s[18:19], v[48:49]
	v_fma_f64 v[48:49], v[74:75], s[18:19], -v[48:49]
	v_mul_f64_e32 v[74:75], s[12:13], v[30:31]
	s_mov_b32 s12, 0x8764f0ba
	s_mov_b32 s13, 0x3feaeb8c
	v_add_f64_e32 v[70:71], v[80:81], v[70:71]
	v_fma_f64 v[80:81], v[42:43], s[20:21], v[91:92]
	v_fma_f64 v[91:92], v[42:43], s[20:21], -v[91:92]
	s_wait_alu 0xfffe
	v_fma_f64 v[107:108], v[42:43], s[12:13], v[93:94]
	v_fma_f64 v[93:94], v[42:43], s[12:13], -v[93:94]
	v_fma_f64 v[42:43], v[42:43], s[18:19], -v[78:79]
	v_add_f64_e32 v[40:41], v[8:9], v[40:41]
	v_add_f64_e32 v[76:77], v[8:9], v[76:77]
	;; [unrolled: 1-line block ×5, first 2 shown]
	v_mul_f64_e32 v[99:100], s[34:35], v[38:39]
	v_fma_f64 v[119:120], v[30:31], s[12:13], v[72:73]
	v_add_f64_e32 v[28:29], v[28:29], v[32:33]
	v_add_f64_e32 v[32:33], v[8:9], v[36:37]
	;; [unrolled: 1-line block ×3, first 2 shown]
	v_mul_f64_e32 v[36:37], s[10:11], v[4:5]
	v_mul_f64_e32 v[48:49], s[28:29], v[38:39]
	;; [unrolled: 1-line block ×3, first 2 shown]
	v_add_f64_e32 v[22:23], v[74:75], v[22:23]
	v_fma_f64 v[74:75], v[30:31], s[20:21], v[101:102]
	v_fma_f64 v[101:102], v[30:31], s[20:21], -v[101:102]
	v_fma_f64 v[30:31], v[30:31], s[12:13], -v[72:73]
	v_add_f64_e32 v[42:43], v[42:43], v[46:47]
	v_add_f64_e32 v[40:41], v[70:71], v[40:41]
	;; [unrolled: 1-line block ×7, first 2 shown]
	v_mul_f64_e32 v[78:79], s[30:31], v[18:19]
	v_mul_f64_e32 v[80:81], s[22:23], v[18:19]
	;; [unrolled: 1-line block ×4, first 2 shown]
	v_fma_f64 v[91:92], v[4:5], s[18:19], v[99:100]
	v_fma_f64 v[93:94], v[4:5], s[18:19], -v[99:100]
	v_fma_f64 v[97:98], v[4:5], s[12:13], -v[113:114]
	v_add_f64_e32 v[24:25], v[24:25], v[28:29]
	v_add_f64_e32 v[28:29], v[109:110], v[32:33]
	;; [unrolled: 1-line block ×3, first 2 shown]
	v_mul_f64_e32 v[32:33], s[4:5], v[0:1]
	v_add_f64_e32 v[14:15], v[36:37], v[14:15]
	v_fma_f64 v[36:37], v[4:5], s[26:27], v[48:49]
	v_fma_f64 v[48:49], v[4:5], s[26:27], -v[48:49]
	v_fma_f64 v[95:96], v[4:5], s[12:13], v[113:114]
	v_fma_f64 v[99:100], v[4:5], s[14:15], v[38:39]
	v_fma_f64 v[4:5], v[4:5], s[14:15], -v[38:39]
	v_add_f64_e32 v[30:31], v[30:31], v[42:43]
	v_add_f64_e32 v[22:23], v[22:23], v[40:41]
	;; [unrolled: 1-line block ×7, first 2 shown]
	v_fma_f64 v[70:71], v[0:1], s[20:21], v[80:81]
	v_fma_f64 v[72:73], v[0:1], s[20:21], -v[80:81]
	v_fma_f64 v[74:75], v[0:1], s[18:19], v[89:90]
	v_fma_f64 v[76:77], v[0:1], s[18:19], -v[89:90]
	v_add_f64_e32 v[20:21], v[20:21], v[24:25]
	v_add_f64_e32 v[24:25], v[117:118], v[28:29]
	;; [unrolled: 1-line block ×4, first 2 shown]
	v_fma_f64 v[28:29], v[0:1], s[12:13], v[78:79]
	v_fma_f64 v[32:33], v[0:1], s[12:13], -v[78:79]
	v_fma_f64 v[78:79], v[0:1], s[14:15], v[18:19]
	v_fma_f64 v[0:1], v[0:1], s[14:15], -v[18:19]
	v_add_f64_e32 v[30:31], v[48:49], v[30:31]
	v_add_f64_e32 v[14:15], v[14:15], v[22:23]
	;; [unrolled: 1-line block ×20, first 2 shown]
	v_mad_u32_u24 v20, 0x50, v84, v88
	ds_store_2addr_b64 v20, v[22:23], v[24:25] offset0:4 offset1:5
	ds_store_2addr_b64 v20, v[4:5], v[0:1] offset0:6 offset1:7
	ds_store_2addr_b64 v20, v[12:13], v[10:11] offset1:1
	ds_store_2addr_b64 v20, v[14:15], v[16:17] offset0:2 offset1:3
	ds_store_2addr_b64 v20, v[8:9], v[18:19] offset0:8 offset1:9
	ds_store_b64 v20, v[6:7] offset:80
.LBB0_15:
	s_or_b32 exec_lo, exec_lo, s33
	v_and_b32_e32 v0, 0xff, v84
	v_add_nc_u32_e32 v92, 0x9a, v84
	v_add_nc_u32_e32 v89, 0x134, v84
	;; [unrolled: 1-line block ×4, first 2 shown]
	v_mul_lo_u16 v0, 0x75, v0
	v_and_b32_e32 v4, 0xffff, v92
	v_and_b32_e32 v5, 0xffff, v89
	;; [unrolled: 1-line block ×4, first 2 shown]
	v_lshrrev_b16 v0, 8, v0
	v_mul_u32_u24_e32 v85, 0xba2f, v4
	s_load_b64 s[2:3], s[2:3], 0x0
	v_mul_u32_u24_e32 v4, 0xba2f, v8
	global_wb scope:SCOPE_SE
	s_wait_dscnt 0x0
	v_sub_nc_u16 v1, v84, v0
	v_lshrrev_b32_e32 v39, 19, v85
	s_wait_kmcnt 0x0
	s_barrier_signal -1
	v_lshrrev_b32_e32 v49, 19, v4
	s_barrier_wait -1
	v_lshrrev_b16 v1, 1, v1
	global_inv scope:SCOPE_SE
	v_add_nc_u32_e32 v93, 0xd00, v88
	v_add_nc_u32_e32 v94, 0x1b00, v88
	v_cmp_gt_u32_e64 s0, 0x42, v84
	v_and_b32_e32 v1, 0x7f, v1
	s_delay_alu instid0(VALU_DEP_1) | instskip(SKIP_2) | instid1(VALU_DEP_3)
	v_add_nc_u16 v0, v1, v0
	v_mul_u32_u24_e32 v1, 0xba2f, v5
	v_mul_u32_u24_e32 v5, 0xba2f, v9
	v_lshrrev_b16 v38, 3, v0
	s_delay_alu instid0(VALU_DEP_3) | instskip(NEXT) | instid1(VALU_DEP_3)
	v_lshrrev_b32_e32 v48, 19, v1
	v_lshrrev_b32_e32 v95, 19, v5
	v_mul_lo_u16 v1, v39, 11
	v_mul_lo_u16 v5, v49, 11
	;; [unrolled: 1-line block ×5, first 2 shown]
	v_sub_nc_u16 v1, v92, v1
	v_sub_nc_u16 v5, v90, v5
	v_sub_nc_u16 v0, v84, v0
	v_sub_nc_u16 v4, v89, v4
	v_sub_nc_u16 v8, v91, v8
	v_and_b32_e32 v97, 0xffff, v1
	v_and_b32_e32 v99, 0xffff, v5
	;; [unrolled: 1-line block ×5, first 2 shown]
	v_lshlrev_b32_e32 v1, 4, v97
	v_lshlrev_b32_e32 v5, 4, v99
	;; [unrolled: 1-line block ×5, first 2 shown]
	v_and_b32_e32 v38, 0xffff, v38
	s_clause 0x4
	global_load_b128 v[8:11], v0, s[8:9]
	global_load_b128 v[28:31], v1, s[8:9]
	;; [unrolled: 1-line block ×5, first 2 shown]
	ds_load_2addr_b64 v[16:19], v27 offset0:40 offset1:194
	ds_load_2addr_b64 v[78:81], v34 offset0:28 offset1:182
	;; [unrolled: 1-line block ×3, first 2 shown]
	v_mul_u32_u24_e32 v27, 0xb0, v48
	v_mul_u32_u24_e32 v38, 0xb0, v38
	;; [unrolled: 1-line block ×3, first 2 shown]
	s_wait_loadcnt_dscnt 0x402
	v_mul_f64_e32 v[0:1], v[18:19], v[10:11]
	s_wait_loadcnt_dscnt 0x301
	v_mul_f64_e32 v[4:5], v[78:79], v[30:31]
	s_wait_loadcnt 0x2
	v_mul_f64_e32 v[12:13], v[80:81], v[42:43]
	s_wait_loadcnt_dscnt 0x100
	v_mul_f64_e32 v[14:15], v[74:75], v[46:47]
	s_wait_loadcnt 0x0
	v_mul_f64_e32 v[20:21], v[76:77], v[72:73]
	v_fma_f64 v[0:1], v[60:61], v[8:9], -v[0:1]
	v_fma_f64 v[4:5], v[54:55], v[28:29], -v[4:5]
	;; [unrolled: 1-line block ×5, first 2 shown]
	v_add_f64_e64 v[22:23], v[62:63], -v[0:1]
	v_add_f64_e64 v[4:5], v[64:65], -v[4:5]
	;; [unrolled: 1-line block ×5, first 2 shown]
	v_fma_f64 v[20:21], v[62:63], 2.0, -v[22:23]
	v_fma_f64 v[32:33], v[64:65], 2.0, -v[4:5]
	;; [unrolled: 1-line block ×5, first 2 shown]
	v_lshlrev_b32_e32 v59, 3, v99
	v_lshlrev_b32_e32 v99, 3, v96
	ds_load_2addr_b64 v[66:69], v88 offset1:154
	ds_load_2addr_b64 v[62:65], v26 offset0:52 offset1:206
	v_mul_u32_u24_e32 v26, 0xb0, v39
	v_mul_u32_u24_e32 v39, 0xb0, v49
	v_lshlrev_b32_e32 v49, 3, v97
	v_lshlrev_b32_e32 v58, 3, v98
	;; [unrolled: 1-line block ×3, first 2 shown]
	v_add3_u32 v99, 0, v38, v99
	v_add3_u32 v97, 0, v39, v59
	;; [unrolled: 1-line block ×5, first 2 shown]
	global_wb scope:SCOPE_SE
	s_wait_dscnt 0x0
	s_barrier_signal -1
	s_barrier_wait -1
	global_inv scope:SCOPE_SE
                                        ; implicit-def: $vgpr48_vgpr49
	ds_store_2addr_b64 v99, v[20:21], v[22:23] offset1:11
	ds_store_2addr_b64 v95, v[32:33], v[4:5] offset1:11
	ds_store_2addr_b64 v96, v[34:35], v[24:25] offset1:11
	ds_store_2addr_b64 v97, v[36:37], v[12:13] offset1:11
	ds_store_2addr_b64 v98, v[14:15], v[0:1] offset1:11
	global_wb scope:SCOPE_SE
	s_wait_dscnt 0x0
	s_barrier_signal -1
	s_barrier_wait -1
	global_inv scope:SCOPE_SE
	ds_load_2addr_b64 v[24:27], v88 offset1:220
	ds_load_2addr_b64 v[36:39], v93 offset0:24 offset1:244
	ds_load_2addr_b64 v[32:35], v94 offset0:16 offset1:236
	ds_load_b64 v[58:59], v88 offset:10560
                                        ; implicit-def: $vgpr22_vgpr23
	s_and_saveexec_b32 s1, s0
	s_cbranch_execz .LBB0_17
; %bb.16:
	v_add_nc_u32_e32 v0, 0x400, v88
	v_add_nc_u32_e32 v1, 0x1200, v88
	v_add_nc_u32_e32 v4, 0x2000, v88
	ds_load_2addr_b64 v[12:15], v0 offset0:26 offset1:246
	ds_load_2addr_b64 v[0:3], v1 offset0:18 offset1:238
	;; [unrolled: 1-line block ×3, first 2 shown]
	ds_load_b64 v[48:49], v88 offset:11792
.LBB0_17:
	s_wait_alu 0xfffe
	s_or_b32 exec_lo, exec_lo, s1
	v_mul_f64_e32 v[4:5], v[60:61], v[10:11]
	v_mul_f64_e32 v[10:11], v[54:55], v[30:31]
	;; [unrolled: 1-line block ×5, first 2 shown]
	global_wb scope:SCOPE_SE
	s_wait_dscnt 0x0
	s_barrier_signal -1
	s_barrier_wait -1
	global_inv scope:SCOPE_SE
                                        ; implicit-def: $vgpr50_vgpr51
	v_fma_f64 v[4:5], v[18:19], v[8:9], v[4:5]
	v_fma_f64 v[8:9], v[78:79], v[28:29], v[10:11]
	v_fma_f64 v[10:11], v[80:81], v[40:41], v[30:31]
	v_fma_f64 v[18:19], v[74:75], v[44:45], v[42:43]
	v_fma_f64 v[28:29], v[76:77], v[70:71], v[46:47]
	v_add_f64_e64 v[30:31], v[66:67], -v[4:5]
	v_add_f64_e64 v[40:41], v[68:69], -v[8:9]
	;; [unrolled: 1-line block ×5, first 2 shown]
	v_fma_f64 v[18:19], v[66:67], 2.0, -v[30:31]
	v_fma_f64 v[28:29], v[68:69], 2.0, -v[40:41]
	;; [unrolled: 1-line block ×5, first 2 shown]
	ds_store_2addr_b64 v99, v[18:19], v[30:31] offset1:11
	ds_store_2addr_b64 v95, v[28:29], v[40:41] offset1:11
	ds_store_2addr_b64 v96, v[44:45], v[42:43] offset1:11
	ds_store_2addr_b64 v97, v[46:47], v[8:9] offset1:11
	ds_store_2addr_b64 v98, v[10:11], v[4:5] offset1:11
	global_wb scope:SCOPE_SE
	s_wait_dscnt 0x0
	s_barrier_signal -1
	s_barrier_wait -1
	global_inv scope:SCOPE_SE
	ds_load_2addr_b64 v[16:19], v88 offset1:220
	ds_load_2addr_b64 v[44:47], v93 offset0:24 offset1:244
	ds_load_2addr_b64 v[40:43], v94 offset0:16 offset1:236
	ds_load_b64 v[56:57], v88 offset:10560
                                        ; implicit-def: $vgpr30_vgpr31
	s_and_saveexec_b32 s1, s0
	s_cbranch_execz .LBB0_19
; %bb.18:
	v_add_nc_u32_e32 v4, 0x400, v88
	v_add_nc_u32_e32 v5, 0x1200, v88
	;; [unrolled: 1-line block ×3, first 2 shown]
	ds_load_2addr_b64 v[8:11], v4 offset0:26 offset1:246
	ds_load_2addr_b64 v[4:7], v5 offset0:18 offset1:238
	;; [unrolled: 1-line block ×3, first 2 shown]
	ds_load_b64 v[50:51], v88 offset:11792
.LBB0_19:
	s_wait_alu 0xfffe
	s_or_b32 exec_lo, exec_lo, s1
	v_lshrrev_b16 v52, 1, v84
	s_mov_b32 s4, 0x37e14327
	s_mov_b32 s12, 0xe976ee23
	;; [unrolled: 1-line block ×4, first 2 shown]
	v_and_b32_e32 v52, 0x7f, v52
	s_mov_b32 s10, 0x429ad128
	s_mov_b32 s14, 0x36b3c0b5
	;; [unrolled: 1-line block ×4, first 2 shown]
	v_mul_lo_u16 v52, 0xbb, v52
	s_mov_b32 s18, 0xaaaaaaaa
	s_mov_b32 s24, 0xb247c609
	;; [unrolled: 1-line block ×4, first 2 shown]
	v_lshrrev_b16 v129, 11, v52
	s_mov_b32 s25, 0x3fd5d0dc
	s_mov_b32 s21, 0x3fe77f67
	;; [unrolled: 1-line block ×4, first 2 shown]
	v_mul_lo_u16 v52, v129, 22
	s_wait_alu 0xfffe
	s_mov_b32 s22, s20
	s_mov_b32 s26, s24
	;; [unrolled: 1-line block ×4, first 2 shown]
	v_sub_nc_u16 v52, v84, v52
	s_delay_alu instid0(VALU_DEP_1) | instskip(NEXT) | instid1(VALU_DEP_1)
	v_and_b32_e32 v130, 0xff, v52
	v_mul_u32_u24_e32 v52, 6, v130
	s_delay_alu instid0(VALU_DEP_1)
	v_lshlrev_b32_e32 v52, 4, v52
	s_clause 0x5
	global_load_b128 v[60:63], v52, s[8:9] offset:176
	global_load_b128 v[64:67], v52, s[8:9] offset:192
	global_load_b128 v[68:71], v52, s[8:9] offset:256
	global_load_b128 v[72:75], v52, s[8:9] offset:240
	global_load_b128 v[76:79], v52, s[8:9] offset:208
	global_load_b128 v[93:96], v52, s[8:9] offset:224
	v_lshrrev_b32_e32 v52, 20, v85
	s_delay_alu instid0(VALU_DEP_1) | instskip(NEXT) | instid1(VALU_DEP_1)
	v_mul_lo_u16 v52, v52, 22
	v_sub_nc_u16 v52, v92, v52
	s_delay_alu instid0(VALU_DEP_1) | instskip(NEXT) | instid1(VALU_DEP_1)
	v_and_b32_e32 v85, 0xffff, v52
	v_mul_u32_u24_e32 v52, 6, v85
	s_delay_alu instid0(VALU_DEP_1)
	v_lshlrev_b32_e32 v52, 4, v52
	s_clause 0x5
	global_load_b128 v[97:100], v52, s[8:9] offset:176
	global_load_b128 v[101:104], v52, s[8:9] offset:192
	;; [unrolled: 1-line block ×6, first 2 shown]
	global_wb scope:SCOPE_SE
	s_wait_loadcnt_dscnt 0x0
	s_barrier_signal -1
	s_barrier_wait -1
	global_inv scope:SCOPE_SE
	v_mul_f64_e32 v[52:53], v[18:19], v[62:63]
	v_mul_f64_e32 v[54:55], v[44:45], v[66:67]
	;; [unrolled: 1-line block ×12, first 2 shown]
	v_fma_f64 v[26:27], v[26:27], v[60:61], -v[52:53]
	v_fma_f64 v[52:53], v[36:37], v[64:65], -v[54:55]
	v_fma_f64 v[36:37], v[58:59], v[68:69], -v[80:81]
	v_fma_f64 v[54:55], v[34:35], v[72:73], -v[121:122]
	v_fma_f64 v[18:19], v[18:19], v[60:61], v[62:63]
	v_fma_f64 v[44:45], v[44:45], v[64:65], v[66:67]
	v_fma_f64 v[34:35], v[38:39], v[76:77], -v[123:124]
	v_fma_f64 v[38:39], v[46:47], v[76:77], v[78:79]
	v_fma_f64 v[32:33], v[32:33], v[93:94], -v[125:126]
	v_fma_f64 v[42:43], v[42:43], v[72:73], v[74:75]
	v_fma_f64 v[40:41], v[40:41], v[93:94], v[95:96]
	;; [unrolled: 1-line block ×3, first 2 shown]
	v_mul_f64_e32 v[80:81], v[6:7], v[107:108]
	v_mul_f64_e32 v[93:94], v[2:3], v[107:108]
	;; [unrolled: 1-line block ×4, first 2 shown]
	v_add_f64_e32 v[56:57], v[26:27], v[36:37]
	v_add_f64_e32 v[58:59], v[52:53], v[54:55]
	;; [unrolled: 1-line block ×3, first 2 shown]
	v_add_f64_e64 v[60:61], v[44:45], -v[42:43]
	v_add_f64_e64 v[64:65], v[40:41], -v[38:39]
	;; [unrolled: 1-line block ×3, first 2 shown]
	v_add_f64_e32 v[68:69], v[58:59], v[56:57]
	v_add_f64_e64 v[70:71], v[56:57], -v[62:63]
	s_delay_alu instid0(VALU_DEP_4) | instskip(NEXT) | instid1(VALU_DEP_4)
	v_add_f64_e64 v[72:73], v[64:65], -v[60:61]
	v_add_f64_e64 v[74:75], v[60:61], -v[66:67]
	v_add_f64_e32 v[60:61], v[64:65], v[60:61]
	v_add_f64_e64 v[64:65], v[66:67], -v[64:65]
	v_add_f64_e32 v[68:69], v[62:63], v[68:69]
	v_add_f64_e64 v[62:63], v[62:63], -v[58:59]
	v_mul_f64_e32 v[70:71], s[4:5], v[70:71]
	v_mul_f64_e32 v[72:73], s[12:13], v[72:73]
	;; [unrolled: 1-line block ×3, first 2 shown]
	v_add_f64_e32 v[78:79], v[24:25], v[68:69]
	v_add_f64_e64 v[24:25], v[58:59], -v[56:57]
	v_mul_f64_e32 v[56:57], s[14:15], v[62:63]
	v_add_f64_e32 v[58:59], v[60:61], v[66:67]
	v_fma_f64 v[60:61], v[62:63], s[14:15], v[70:71]
	v_fma_f64 v[62:63], v[64:65], s[24:25], v[72:73]
	v_fma_f64 v[66:67], v[74:75], s[10:11], -v[72:73]
	s_wait_alu 0xfffe
	v_fma_f64 v[64:65], v[64:65], s[26:27], -v[76:77]
	v_mul_f64_e32 v[72:73], v[14:15], v[99:100]
	v_mul_f64_e32 v[74:75], v[4:5], v[103:104]
	;; [unrolled: 1-line block ×4, first 2 shown]
	v_fma_f64 v[68:69], v[68:69], s[18:19], v[78:79]
	v_fma_f64 v[70:71], v[24:25], s[22:23], -v[70:71]
	v_fma_f64 v[24:25], v[24:25], s[20:21], -v[56:57]
	v_mul_f64_e32 v[56:57], v[10:11], v[99:100]
	v_mul_f64_e32 v[99:100], v[20:21], v[111:112]
	;; [unrolled: 1-line block ×4, first 2 shown]
	v_fma_f64 v[115:116], v[58:59], s[28:29], v[62:63]
	v_fma_f64 v[121:122], v[58:59], s[28:29], v[66:67]
	;; [unrolled: 1-line block ×4, first 2 shown]
	v_fma_f64 v[58:59], v[2:3], v[105:106], -v[80:81]
	v_fma_f64 v[64:65], v[4:5], v[101:102], v[76:77]
	v_fma_f64 v[66:67], v[6:7], v[105:106], v[93:94]
	v_fma_f64 v[22:23], v[22:23], v[113:114], -v[103:104]
	v_add_f64_e32 v[125:126], v[60:61], v[68:69]
	v_add_f64_e32 v[70:71], v[70:71], v[68:69]
	;; [unrolled: 1-line block ×3, first 2 shown]
	v_fma_f64 v[24:25], v[14:15], v[97:98], -v[56:57]
	v_fma_f64 v[56:57], v[0:1], v[101:102], -v[74:75]
	;; [unrolled: 1-line block ×3, first 2 shown]
	v_fma_f64 v[28:29], v[28:29], v[109:110], v[99:100]
	v_fma_f64 v[68:69], v[30:31], v[113:114], v[107:108]
	v_fma_f64 v[30:31], v[48:49], v[117:118], -v[111:112]
	v_fma_f64 v[48:49], v[50:51], v[117:118], v[119:120]
	v_and_b32_e32 v20, 0xffff, v129
	v_lshlrev_b32_e32 v21, 3, v130
	v_lshrrev_b16 v51, 1, v92
	v_lshlrev_b32_e32 v50, 3, v85
	s_delay_alu instid0(VALU_DEP_4)
	v_mul_u32_u24_e32 v20, 0x4d0, v20
	v_add_f64_e32 v[0:1], v[115:116], v[125:126]
	v_add_f64_e32 v[2:3], v[123:124], v[70:71]
	v_add_f64_e64 v[4:5], v[127:128], -v[121:122]
	v_add_f64_e32 v[6:7], v[121:122], v[127:128]
	v_add_f64_e64 v[10:11], v[70:71], -v[123:124]
	v_add_f64_e64 v[14:15], v[125:126], -v[115:116]
	v_add3_u32 v70, 0, v20, v21
	ds_store_2addr_b64 v70, v[78:79], v[0:1] offset1:22
	ds_store_2addr_b64 v70, v[2:3], v[4:5] offset0:44 offset1:66
	ds_store_2addr_b64 v70, v[6:7], v[10:11] offset0:88 offset1:110
	ds_store_b64 v70, v[14:15] offset:1056
	s_and_saveexec_b32 s1, s0
	s_cbranch_execz .LBB0_21
; %bb.20:
	v_add_f64_e32 v[0:1], v[56:57], v[22:23]
	v_add_f64_e32 v[2:3], v[24:25], v[30:31]
	v_add_f64_e64 v[4:5], v[28:29], -v[66:67]
	v_add_f64_e64 v[6:7], v[64:65], -v[68:69]
	v_add_f64_e32 v[10:11], v[58:59], v[60:61]
	v_add_f64_e64 v[14:15], v[62:63], -v[48:49]
	v_add_f64_e32 v[20:21], v[0:1], v[2:3]
	s_delay_alu instid0(VALU_DEP_4) | instskip(NEXT) | instid1(VALU_DEP_4)
	v_add_f64_e64 v[71:72], v[4:5], -v[6:7]
	v_add_f64_e64 v[73:74], v[2:3], -v[10:11]
	s_delay_alu instid0(VALU_DEP_4)
	v_add_f64_e64 v[75:76], v[6:7], -v[14:15]
	v_add_f64_e32 v[6:7], v[4:5], v[6:7]
	v_add_f64_e64 v[4:5], v[14:15], -v[4:5]
	v_add_f64_e32 v[20:21], v[10:11], v[20:21]
	v_add_f64_e64 v[10:11], v[10:11], -v[0:1]
	v_add_f64_e64 v[0:1], v[0:1], -v[2:3]
	v_mul_f64_e32 v[2:3], s[12:13], v[71:72]
	v_mul_f64_e32 v[71:72], s[4:5], v[73:74]
	;; [unrolled: 1-line block ×3, first 2 shown]
	v_add_f64_e32 v[6:7], v[6:7], v[14:15]
	v_add_f64_e32 v[12:13], v[12:13], v[20:21]
	v_mul_f64_e32 v[77:78], s[14:15], v[10:11]
	v_fma_f64 v[14:15], v[4:5], s[24:25], v[2:3]
	v_fma_f64 v[10:11], v[10:11], s[14:15], v[71:72]
	v_fma_f64 v[79:80], v[0:1], s[22:23], -v[71:72]
	v_fma_f64 v[4:5], v[4:5], s[26:27], -v[73:74]
	;; [unrolled: 1-line block ×3, first 2 shown]
	v_fma_f64 v[20:21], v[20:21], s[18:19], v[12:13]
	v_fma_f64 v[0:1], v[0:1], s[20:21], -v[77:78]
	v_fma_f64 v[14:15], v[6:7], s[28:29], v[14:15]
	v_fma_f64 v[4:5], v[6:7], s[28:29], v[4:5]
	;; [unrolled: 1-line block ×3, first 2 shown]
	v_add_f64_e32 v[10:11], v[10:11], v[20:21]
	v_add_f64_e32 v[6:7], v[79:80], v[20:21]
	;; [unrolled: 1-line block ×3, first 2 shown]
	s_delay_alu instid0(VALU_DEP_3) | instskip(NEXT) | instid1(VALU_DEP_3)
	v_add_f64_e32 v[73:74], v[14:15], v[10:11]
	v_add_f64_e64 v[20:21], v[6:7], -v[4:5]
	s_delay_alu instid0(VALU_DEP_3) | instskip(SKIP_4) | instid1(VALU_DEP_1)
	v_add_f64_e64 v[71:72], v[0:1], -v[2:3]
	v_add_f64_e32 v[4:5], v[4:5], v[6:7]
	v_add_f64_e32 v[0:1], v[2:3], v[0:1]
	v_add_f64_e64 v[2:3], v[10:11], -v[14:15]
	v_and_b32_e32 v6, 0x7f, v51
	v_mul_lo_u16 v6, 0xbb, v6
	s_delay_alu instid0(VALU_DEP_1) | instskip(NEXT) | instid1(VALU_DEP_1)
	v_lshrrev_b16 v6, 11, v6
	v_and_b32_e32 v6, 0xffff, v6
	s_delay_alu instid0(VALU_DEP_1) | instskip(NEXT) | instid1(VALU_DEP_1)
	v_mul_u32_u24_e32 v6, 0x4d0, v6
	v_add3_u32 v6, 0, v6, v50
	ds_store_2addr_b64 v6, v[12:13], v[73:74] offset1:22
	ds_store_2addr_b64 v6, v[4:5], v[71:72] offset0:44 offset1:66
	ds_store_2addr_b64 v6, v[0:1], v[20:21] offset0:88 offset1:110
	ds_store_b64 v6, v[2:3] offset:1056
.LBB0_21:
	s_wait_alu 0xfffe
	s_or_b32 exec_lo, exec_lo, s1
	v_add_f64_e32 v[0:1], v[18:19], v[46:47]
	v_add_f64_e32 v[2:3], v[44:45], v[42:43]
	v_add_f64_e64 v[4:5], v[52:53], -v[54:55]
	v_add_f64_e32 v[6:7], v[38:39], v[40:41]
	v_add_f64_e64 v[10:11], v[32:33], -v[34:35]
	v_add_f64_e64 v[12:13], v[26:27], -v[36:37]
	global_wb scope:SCOPE_SE
	s_wait_dscnt 0x0
	s_barrier_signal -1
	s_barrier_wait -1
	global_inv scope:SCOPE_SE
	v_add_f64_e32 v[14:15], v[2:3], v[0:1]
	v_add_f64_e64 v[18:19], v[0:1], -v[6:7]
	v_add_f64_e64 v[20:21], v[10:11], -v[4:5]
	;; [unrolled: 1-line block ×3, first 2 shown]
	v_add_f64_e32 v[4:5], v[10:11], v[4:5]
	v_add_f64_e64 v[10:11], v[12:13], -v[10:11]
	v_add_f64_e64 v[0:1], v[2:3], -v[0:1]
	v_add_f64_e32 v[14:15], v[6:7], v[14:15]
	v_add_f64_e64 v[6:7], v[6:7], -v[2:3]
	v_mul_f64_e32 v[18:19], s[4:5], v[18:19]
	v_mul_f64_e32 v[20:21], s[12:13], v[20:21]
	;; [unrolled: 1-line block ×3, first 2 shown]
	v_add_f64_e32 v[4:5], v[4:5], v[12:13]
	v_add_f64_e32 v[34:35], v[16:17], v[14:15]
	v_mul_f64_e32 v[2:3], s[14:15], v[6:7]
	v_fma_f64 v[6:7], v[6:7], s[14:15], v[18:19]
	v_fma_f64 v[12:13], v[10:11], s[24:25], v[20:21]
	v_fma_f64 v[16:17], v[26:27], s[10:11], -v[20:21]
	v_fma_f64 v[10:11], v[10:11], s[26:27], -v[32:33]
	;; [unrolled: 1-line block ×3, first 2 shown]
	v_add_nc_u32_e32 v26, 0x800, v88
	v_add_nc_u32_e32 v27, 0x1200, v88
	;; [unrolled: 1-line block ×4, first 2 shown]
	v_fma_f64 v[14:15], v[14:15], s[18:19], v[34:35]
	v_fma_f64 v[0:1], v[0:1], s[20:21], -v[2:3]
	v_fma_f64 v[2:3], v[4:5], s[28:29], v[12:13]
	v_fma_f64 v[12:13], v[4:5], s[28:29], v[16:17]
	;; [unrolled: 1-line block ×3, first 2 shown]
	v_add_f64_e32 v[6:7], v[6:7], v[14:15]
	v_add_f64_e32 v[10:11], v[18:19], v[14:15]
	;; [unrolled: 1-line block ×3, first 2 shown]
	s_delay_alu instid0(VALU_DEP_3) | instskip(NEXT) | instid1(VALU_DEP_3)
	v_add_f64_e64 v[36:37], v[6:7], -v[2:3]
	v_add_f64_e64 v[38:39], v[10:11], -v[4:5]
	s_delay_alu instid0(VALU_DEP_3)
	v_add_f64_e32 v[40:41], v[12:13], v[0:1]
	v_add_f64_e64 v[42:43], v[0:1], -v[12:13]
	v_add_f64_e32 v[44:45], v[4:5], v[10:11]
	v_add_f64_e32 v[46:47], v[2:3], v[6:7]
	ds_load_2addr_b64 v[0:3], v88 offset1:154
	ds_load_2addr_b64 v[4:7], v26 offset0:52 offset1:206
	ds_load_2addr_b64 v[14:17], v27 offset0:40 offset1:194
	;; [unrolled: 1-line block ×4, first 2 shown]
	global_wb scope:SCOPE_SE
	s_wait_dscnt 0x0
	s_barrier_signal -1
	s_barrier_wait -1
	global_inv scope:SCOPE_SE
	ds_store_2addr_b64 v70, v[34:35], v[36:37] offset1:22
	ds_store_2addr_b64 v70, v[38:39], v[40:41] offset0:44 offset1:66
	ds_store_2addr_b64 v70, v[42:43], v[44:45] offset0:88 offset1:110
	ds_store_b64 v70, v[46:47] offset:1056
	s_and_saveexec_b32 s1, s0
	s_cbranch_execz .LBB0_23
; %bb.22:
	v_add_f64_e32 v[34:35], v[62:63], v[48:49]
	v_add_f64_e32 v[36:37], v[64:65], v[68:69]
	v_add_f64_e32 v[28:29], v[66:67], v[28:29]
	v_add_f64_e64 v[22:23], v[56:57], -v[22:23]
	v_add_f64_e64 v[38:39], v[60:61], -v[58:59]
	;; [unrolled: 1-line block ×3, first 2 shown]
	s_mov_b32 s10, 0x36b3c0b5
	s_mov_b32 s11, 0x3fac98ee
	;; [unrolled: 1-line block ×6, first 2 shown]
	v_add_f64_e32 v[30:31], v[36:37], v[34:35]
	v_add_f64_e64 v[40:41], v[34:35], -v[28:29]
	v_add_f64_e64 v[42:43], v[28:29], -v[36:37]
	;; [unrolled: 1-line block ×4, first 2 shown]
	v_add_f64_e32 v[22:23], v[38:39], v[22:23]
	v_add_f64_e32 v[28:29], v[28:29], v[30:31]
	v_add_f64_e64 v[30:31], v[36:37], -v[34:35]
	v_mul_f64_e32 v[36:37], s[4:5], v[40:41]
	s_mov_b32 s4, 0x429ad128
	v_add_f64_e64 v[34:35], v[24:25], -v[38:39]
	s_wait_alu 0xfffe
	v_mul_f64_e32 v[38:39], s[10:11], v[42:43]
	v_mul_f64_e32 v[40:41], s[12:13], v[44:45]
	s_mov_b32 s5, 0x3febfeb5
	s_mov_b32 s12, 0xaaaaaaaa
	s_wait_alu 0xfffe
	v_mul_f64_e32 v[44:45], s[4:5], v[46:47]
	s_mov_b32 s13, 0xbff2aaaa
	v_add_f64_e32 v[22:23], v[22:23], v[24:25]
	v_add_f64_e32 v[8:9], v[8:9], v[28:29]
	v_fma_f64 v[24:25], v[42:43], s[10:11], v[36:37]
	v_fma_f64 v[38:39], v[30:31], s[14:15], -v[38:39]
	s_mov_b32 s15, 0xbfe77f67
	v_fma_f64 v[42:43], v[34:35], s[18:19], v[40:41]
	s_mov_b32 s19, 0xbfd5d0dc
	v_fma_f64 v[40:41], v[46:47], s[4:5], -v[40:41]
	s_wait_alu 0xfffe
	v_fma_f64 v[34:35], v[34:35], s[18:19], -v[44:45]
	v_fma_f64 v[30:31], v[30:31], s[14:15], -v[36:37]
	s_mov_b32 s4, 0x37c3f68c
	s_mov_b32 s5, 0x3fdc38aa
	v_fma_f64 v[28:29], v[28:29], s[12:13], v[8:9]
	s_wait_alu 0xfffe
	v_fma_f64 v[36:37], v[22:23], s[4:5], v[42:43]
	v_fma_f64 v[40:41], v[22:23], s[4:5], v[40:41]
	;; [unrolled: 1-line block ×3, first 2 shown]
	s_delay_alu instid0(VALU_DEP_4) | instskip(SKIP_2) | instid1(VALU_DEP_3)
	v_add_f64_e32 v[24:25], v[24:25], v[28:29]
	v_add_f64_e32 v[30:31], v[30:31], v[28:29]
	;; [unrolled: 1-line block ×3, first 2 shown]
	v_add_f64_e64 v[34:35], v[24:25], -v[36:37]
	s_delay_alu instid0(VALU_DEP_3) | instskip(NEXT) | instid1(VALU_DEP_3)
	v_add_f64_e64 v[38:39], v[30:31], -v[22:23]
	v_add_f64_e32 v[42:43], v[40:41], v[28:29]
	v_add_f64_e64 v[28:29], v[28:29], -v[40:41]
	v_add_f64_e32 v[22:23], v[22:23], v[30:31]
	v_add_f64_e32 v[24:25], v[36:37], v[24:25]
	v_and_b32_e32 v30, 0x7f, v51
	s_delay_alu instid0(VALU_DEP_1) | instskip(NEXT) | instid1(VALU_DEP_1)
	v_mul_lo_u16 v30, 0xbb, v30
	v_lshrrev_b16 v30, 11, v30
	s_delay_alu instid0(VALU_DEP_1) | instskip(NEXT) | instid1(VALU_DEP_1)
	v_and_b32_e32 v30, 0xffff, v30
	v_mul_u32_u24_e32 v30, 0x4d0, v30
	s_delay_alu instid0(VALU_DEP_1)
	v_add3_u32 v30, 0, v30, v50
	ds_store_2addr_b64 v30, v[8:9], v[34:35] offset1:22
	ds_store_2addr_b64 v30, v[38:39], v[42:43] offset0:44 offset1:66
	ds_store_2addr_b64 v30, v[28:29], v[22:23] offset0:88 offset1:110
	ds_store_b64 v30, v[24:25] offset:1056
.LBB0_23:
	s_wait_alu 0xfffe
	s_or_b32 exec_lo, exec_lo, s1
	v_dual_mov_b32 v23, 0 :: v_dual_lshlrev_b32 v22, 2, v84
	global_wb scope:SCOPE_SE
	s_wait_dscnt 0x0
	s_barrier_signal -1
	s_barrier_wait -1
	global_inv scope:SCOPE_SE
	v_lshlrev_b64_e32 v[8:9], 4, v[22:23]
	s_mov_b32 s5, 0xbfee6f0e
	s_mov_b32 s10, 0x4755a5e
	;; [unrolled: 1-line block ×4, first 2 shown]
	s_wait_alu 0xfffe
	s_mov_b32 s12, s10
	v_add_co_u32 v8, s0, s8, v8
	s_wait_alu 0xf1ff
	v_add_co_ci_u32_e64 v9, s0, s9, v9, s0
	s_mov_b32 s0, 0x134454ff
	s_mov_b32 s1, 0x3fee6f0e
	s_clause 0x3
	global_load_b128 v[28:31], v[8:9], off offset:2304
	global_load_b128 v[34:37], v[8:9], off offset:2320
	;; [unrolled: 1-line block ×4, first 2 shown]
	ds_load_2addr_b64 v[46:49], v27 offset0:40 offset1:194
	ds_load_2addr_b64 v[50:53], v32 offset0:28 offset1:182
	ds_load_2addr_b64 v[54:57], v26 offset0:52 offset1:206
	ds_load_2addr_b64 v[58:61], v33 offset0:80 offset1:234
	s_wait_alu 0xfffe
	s_mov_b32 s4, s0
	s_wait_loadcnt_dscnt 0x303
	v_mul_f64_e32 v[8:9], v[46:47], v[30:31]
	s_wait_loadcnt_dscnt 0x202
	v_mul_f64_e32 v[24:25], v[50:51], v[36:37]
	;; [unrolled: 2-line block ×4, first 2 shown]
	v_mul_f64_e32 v[66:67], v[48:49], v[30:31]
	v_mul_f64_e32 v[68:69], v[52:53], v[36:37]
	;; [unrolled: 1-line block ×12, first 2 shown]
	v_fma_f64 v[8:9], v[14:15], v[28:29], -v[8:9]
	v_fma_f64 v[14:15], v[18:19], v[34:35], -v[24:25]
	;; [unrolled: 1-line block ×8, first 2 shown]
	v_fma_f64 v[46:47], v[46:47], v[28:29], v[74:75]
	v_fma_f64 v[50:51], v[50:51], v[34:35], v[76:77]
	;; [unrolled: 1-line block ×8, first 2 shown]
	ds_load_2addr_b64 v[4:7], v88 offset1:154
	global_wb scope:SCOPE_SE
	s_wait_dscnt 0x0
	s_barrier_signal -1
	s_barrier_wait -1
	global_inv scope:SCOPE_SE
	v_add_f64_e32 v[38:39], v[8:9], v[14:15]
	v_add_f64_e32 v[62:63], v[0:1], v[18:19]
	;; [unrolled: 1-line block ×3, first 2 shown]
	v_add_f64_e64 v[74:75], v[8:9], -v[18:19]
	v_add_f64_e32 v[42:43], v[16:17], v[20:21]
	v_add_f64_e32 v[66:67], v[2:3], v[24:25]
	;; [unrolled: 1-line block ×3, first 2 shown]
	v_add_f64_e64 v[80:81], v[8:9], -v[14:15]
	v_add_f64_e32 v[48:49], v[46:47], v[50:51]
	v_add_f64_e64 v[68:69], v[46:47], -v[50:51]
	v_add_f64_e32 v[52:53], v[54:55], v[58:59]
	;; [unrolled: 2-line block ×4, first 2 shown]
	v_add_f64_e32 v[76:77], v[4:5], v[54:55]
	v_add_f64_e32 v[78:79], v[6:7], v[34:35]
	v_add_f64_e64 v[93:94], v[16:17], -v[20:21]
	v_add_f64_e64 v[72:73], v[10:11], -v[14:15]
	;; [unrolled: 1-line block ×12, first 2 shown]
	v_fma_f64 v[38:39], v[38:39], -0.5, v[0:1]
	v_fma_f64 v[0:1], v[40:41], -0.5, v[0:1]
	v_add_f64_e64 v[40:41], v[34:35], -v[36:37]
	v_fma_f64 v[42:43], v[42:43], -0.5, v[2:3]
	v_add_f64_e64 v[34:35], v[28:29], -v[34:35]
	;; [unrolled: 2-line block ×3, first 2 shown]
	v_add_f64_e64 v[18:19], v[18:19], -v[10:11]
	v_fma_f64 v[48:49], v[48:49], -0.5, v[4:5]
	v_fma_f64 v[4:5], v[52:53], -0.5, v[4:5]
	v_add_f64_e64 v[52:53], v[24:25], -v[12:13]
	v_fma_f64 v[56:57], v[56:57], -0.5, v[6:7]
	v_add_f64_e64 v[24:25], v[16:17], -v[24:25]
	v_fma_f64 v[6:7], v[60:61], -0.5, v[6:7]
	v_add_f64_e32 v[8:9], v[62:63], v[8:9]
	v_add_f64_e32 v[16:17], v[66:67], v[16:17]
	v_add_f64_e64 v[60:61], v[14:15], -v[10:11]
	v_add_f64_e32 v[46:47], v[76:77], v[46:47]
	v_add_f64_e32 v[28:29], v[78:79], v[28:29]
	;; [unrolled: 1-line block ×3, first 2 shown]
	v_fma_f64 v[62:63], v[64:65], s[0:1], v[38:39]
	s_wait_alu 0xfffe
	v_fma_f64 v[38:39], v[64:65], s[4:5], v[38:39]
	v_fma_f64 v[66:67], v[68:69], s[4:5], v[0:1]
	;; [unrolled: 1-line block ×7, first 2 shown]
	v_add_f64_e32 v[44:45], v[44:45], v[72:73]
	v_fma_f64 v[76:77], v[18:19], s[4:5], v[48:49]
	v_fma_f64 v[48:49], v[18:19], s[0:1], v[48:49]
	;; [unrolled: 1-line block ×8, first 2 shown]
	v_add_f64_e32 v[8:9], v[8:9], v[14:15]
	v_add_f64_e32 v[14:15], v[16:17], v[20:21]
	;; [unrolled: 1-line block ×8, first 2 shown]
	s_mov_b32 s0, 0x372fe950
	s_mov_b32 s1, 0x3fd3c6ef
	v_fma_f64 v[16:17], v[68:69], s[10:11], v[62:63]
	v_fma_f64 v[20:21], v[68:69], s[12:13], v[38:39]
	;; [unrolled: 1-line block ×8, first 2 shown]
	v_add_f64_e32 v[40:41], v[105:106], v[107:108]
	v_fma_f64 v[30:31], v[80:81], s[12:13], v[76:77]
	v_fma_f64 v[48:49], v[80:81], s[10:11], v[48:49]
	;; [unrolled: 1-line block ×4, first 2 shown]
	v_add_f64_e32 v[66:67], v[111:112], v[113:114]
	v_fma_f64 v[18:19], v[93:94], s[12:13], v[117:118]
	v_fma_f64 v[68:69], v[52:53], s[12:13], v[119:120]
	;; [unrolled: 1-line block ×4, first 2 shown]
	v_add_f64_e32 v[8:9], v[8:9], v[10:11]
	v_add_f64_e32 v[10:11], v[14:15], v[12:13]
	;; [unrolled: 1-line block ×3, first 2 shown]
	s_wait_alu 0xfffe
	v_fma_f64 v[12:13], v[44:45], s[0:1], v[16:17]
	v_fma_f64 v[14:15], v[44:45], s[0:1], v[20:21]
	;; [unrolled: 1-line block ×8, first 2 shown]
	v_add_f64_e32 v[24:25], v[46:47], v[58:59]
	v_fma_f64 v[30:31], v[40:41], s[0:1], v[30:31]
	v_fma_f64 v[36:37], v[40:41], s[0:1], v[48:49]
	;; [unrolled: 1-line block ×4, first 2 shown]
	ds_store_2addr_b64 v88, v[8:9], v[12:13] offset1:154
	ds_store_2addr_b64 v26, v[16:17], v[0:1] offset0:52 offset1:206
	ds_store_2addr_b64 v27, v[14:15], v[10:11] offset0:40 offset1:194
	;; [unrolled: 1-line block ×4, first 2 shown]
	v_fma_f64 v[46:47], v[66:67], s[0:1], v[18:19]
	v_fma_f64 v[50:51], v[34:35], s[0:1], v[68:69]
	;; [unrolled: 1-line block ×4, first 2 shown]
	global_wb scope:SCOPE_SE
	s_wait_dscnt 0x0
	s_barrier_signal -1
	s_barrier_wait -1
	global_inv scope:SCOPE_SE
	ds_load_2addr_b64 v[8:11], v88 offset1:154
	ds_load_2addr_b64 v[0:3], v27 offset0:40 offset1:194
	ds_load_2addr_b64 v[16:19], v32 offset0:28 offset1:182
	;; [unrolled: 1-line block ×4, first 2 shown]
	global_wb scope:SCOPE_SE
	s_wait_dscnt 0x0
	s_barrier_signal -1
	s_barrier_wait -1
	global_inv scope:SCOPE_SE
	ds_store_2addr_b64 v88, v[24:25], v[30:31] offset1:154
	ds_store_2addr_b64 v26, v[40:41], v[44:45] offset0:52 offset1:206
	ds_store_2addr_b64 v27, v[36:37], v[28:29] offset0:40 offset1:194
	;; [unrolled: 1-line block ×4, first 2 shown]
	global_wb scope:SCOPE_SE
	s_wait_dscnt 0x0
	s_barrier_signal -1
	s_barrier_wait -1
	global_inv scope:SCOPE_SE
	s_and_saveexec_b32 s0, vcc_lo
	s_cbranch_execz .LBB0_25
; %bb.24:
	v_dual_mov_b32 v85, v23 :: v_dual_add_nc_u32 v48, 0x1200, v88
	v_mad_co_u64_u32 v[62:63], null, s16, v84, 0
	v_lshlrev_b64_e32 v[64:65], 4, v[82:83]
	s_delay_alu instid0(VALU_DEP_3)
	v_lshlrev_b64_e32 v[20:21], 4, v[84:85]
	v_add_nc_u32_e32 v85, 0x302, v84
	v_mad_co_u64_u32 v[66:67], null, s16, v92, 0
	v_mul_lo_u32 v72, s3, v86
	v_mad_co_u64_u32 v[82:83], null, s17, v84, v[63:64]
	v_add_co_u32 v36, vcc_lo, s8, v20
	s_wait_alu 0xfffd
	v_add_co_ci_u32_e32 v37, vcc_lo, s9, v21, vcc_lo
	v_mad_co_u64_u32 v[68:69], null, s16, v85, 0
	s_clause 0x4
	global_load_b128 v[20:23], v[36:37], off offset:22000
	global_load_b128 v[24:27], v[36:37], off offset:12144
	;; [unrolled: 1-line block ×5, first 2 shown]
	v_add_nc_u32_e32 v44, 0x2400, v88
	v_add_nc_u32_e32 v52, 0x1c00, v88
	ds_load_2addr_b64 v[48:51], v48 offset0:40 offset1:194
	v_mad_co_u64_u32 v[60:61], null, s2, v86, 0
	v_dual_mov_b32 v63, v69 :: v_dual_add_nc_u32 v86, 0x39c, v84
	v_mad_co_u64_u32 v[83:84], null, s17, v92, v[67:68]
	ds_load_2addr_b64 v[44:47], v44 offset0:80 offset1:234
	v_mad_co_u64_u32 v[84:85], null, s17, v85, v[63:64]
	v_mov_b32_e32 v63, v82
	ds_load_2addr_b64 v[52:55], v52 offset0:28 offset1:182
	v_mul_hi_u32 v74, 0x551c979b, v89
	v_mul_hi_u32 v75, 0x551c979b, v90
	;; [unrolled: 1-line block ×3, first 2 shown]
	v_mul_lo_u32 v73, s2, v87
	ds_load_2addr_b64 v[40:43], v88 offset1:154
	v_mad_co_u64_u32 v[70:71], null, s16, v86, 0
	v_add_nc_u32_e32 v56, 0x800, v88
	v_lshrrev_b32_e32 v87, 8, v74
	v_lshrrev_b32_e32 v88, 8, v75
	;; [unrolled: 1-line block ×3, first 2 shown]
	v_add3_u32 v61, v61, v73, v72
	v_mov_b32_e32 v69, v84
	v_mov_b32_e32 v67, v71
	v_mad_u32_u24 v92, 0x302, v87, v89
	v_mad_u32_u24 v94, 0x302, v88, v90
	;; [unrolled: 1-line block ×3, first 2 shown]
	ds_load_2addr_b64 v[56:59], v56 offset0:52 offset1:206
	v_mad_co_u64_u32 v[85:86], null, s17, v86, v[67:68]
	v_lshlrev_b64_e32 v[60:61], 4, v[60:61]
	v_mad_co_u64_u32 v[86:87], null, s16, v92, 0
	v_mad_co_u64_u32 v[88:89], null, s16, v94, 0
	v_mad_co_u64_u32 v[90:91], null, s16, v93, 0
	s_delay_alu instid0(VALU_DEP_4)
	v_add_co_u32 v60, vcc_lo, s6, v60
	s_wait_alu 0xfffd
	v_add_co_ci_u32_e32 v61, vcc_lo, s7, v61, vcc_lo
	v_add_nc_u32_e32 v95, 0x302, v92
	v_dual_mov_b32 v67, v83 :: v_dual_add_nc_u32 v96, 0x302, v94
	v_add_nc_u32_e32 v97, 0x302, v93
	v_mov_b32_e32 v71, v85
	s_wait_loadcnt 0x4
	v_mul_f64_e32 v[72:73], v[14:15], v[22:23]
	s_wait_loadcnt 0x3
	v_mul_f64_e32 v[74:75], v[2:3], v[26:27]
	s_wait_dscnt 0x4
	v_mul_f64_e32 v[26:27], v[50:51], v[26:27]
	s_wait_loadcnt 0x2
	v_mul_f64_e32 v[76:77], v[16:17], v[30:31]
	s_wait_dscnt 0x2
	v_mul_f64_e32 v[30:31], v[52:53], v[30:31]
	s_wait_loadcnt 0x1
	v_mul_f64_e32 v[78:79], v[18:19], v[34:35]
	v_mul_f64_e32 v[34:35], v[54:55], v[34:35]
	s_wait_loadcnt 0x0
	v_mul_f64_e32 v[80:81], v[12:13], v[38:39]
	v_mul_f64_e32 v[38:39], v[44:45], v[38:39]
	;; [unrolled: 1-line block ×3, first 2 shown]
	v_fma_f64 v[46:47], v[46:47], v[20:21], v[72:73]
	v_fma_f64 v[50:51], v[50:51], v[24:25], v[74:75]
	v_fma_f64 v[2:3], v[2:3], v[24:25], -v[26:27]
	v_fma_f64 v[24:25], v[52:53], v[28:29], v[76:77]
	v_fma_f64 v[26:27], v[16:17], v[28:29], -v[30:31]
	;; [unrolled: 2-line block ×4, first 2 shown]
	v_fma_f64 v[34:35], v[14:15], v[20:21], -v[22:23]
	v_dual_mov_b32 v14, v87 :: v_dual_mov_b32 v15, v89
	v_mov_b32_e32 v16, v91
	v_add_co_u32 v72, vcc_lo, v60, v64
	s_wait_alu 0xfffd
	v_add_co_ci_u32_e32 v73, vcc_lo, v61, v65, vcc_lo
	v_mad_co_u64_u32 v[64:65], null, s17, v92, v[14:15]
	v_lshlrev_b64_e32 v[38:39], 4, v[66:67]
	v_mad_co_u64_u32 v[65:66], null, s17, v94, v[15:16]
	v_mad_co_u64_u32 v[66:67], null, s17, v93, v[16:17]
	;; [unrolled: 1-line block ×4, first 2 shown]
	v_lshlrev_b64_e32 v[36:37], 4, v[62:63]
	v_mad_co_u64_u32 v[44:45], null, s16, v95, 0
	v_lshlrev_b64_e32 v[60:61], 4, v[68:69]
	v_mov_b32_e32 v87, v64
	v_lshlrev_b64_e32 v[62:63], 4, v[70:71]
	v_mov_b32_e32 v89, v65
	v_mov_b32_e32 v91, v66
	s_delay_alu instid0(VALU_DEP_4)
	v_lshlrev_b64_e32 v[64:65], 4, v[86:87]
	v_add_f64_e64 v[14:15], v[48:49], -v[46:47]
	s_wait_dscnt 0x1
	v_add_f64_e64 v[18:19], v[40:41], -v[50:51]
	v_add_f64_e64 v[16:17], v[8:9], -v[2:3]
	;; [unrolled: 1-line block ×4, first 2 shown]
	s_wait_dscnt 0x0
	v_add_f64_e64 v[26:27], v[56:57], -v[28:29]
	v_add_f64_e64 v[24:25], v[4:5], -v[30:31]
	v_add_f64_e64 v[30:31], v[58:59], -v[32:33]
	v_add_f64_e64 v[28:29], v[6:7], -v[12:13]
	v_add_f64_e64 v[12:13], v[0:1], -v[34:35]
	v_mad_co_u64_u32 v[32:33], null, s17, v96, v[53:54]
	v_mad_co_u64_u32 v[33:34], null, s17, v97, v[55:56]
	v_add_co_u32 v46, vcc_lo, v72, v36
	s_wait_alu 0xfffd
	v_add_co_ci_u32_e32 v47, vcc_lo, v73, v37, vcc_lo
	v_add_co_u32 v50, vcc_lo, v72, v38
	s_delay_alu instid0(VALU_DEP_3)
	v_mad_co_u64_u32 v[2:3], null, s17, v95, v[45:46]
	v_mov_b32_e32 v53, v32
	v_mov_b32_e32 v55, v33
	s_wait_alu 0xfffd
	v_add_co_ci_u32_e32 v51, vcc_lo, v73, v39, vcc_lo
	v_add_co_u32 v60, vcc_lo, v72, v60
	v_mov_b32_e32 v45, v2
	s_wait_alu 0xfffd
	v_add_co_ci_u32_e32 v61, vcc_lo, v73, v61, vcc_lo
	v_add_co_u32 v62, vcc_lo, v72, v62
	s_wait_alu 0xfffd
	v_add_co_ci_u32_e32 v63, vcc_lo, v73, v63, vcc_lo
	v_lshlrev_b64_e32 v[44:45], 4, v[44:45]
	v_fma_f64 v[34:35], v[40:41], 2.0, -v[18:19]
	v_fma_f64 v[32:33], v[8:9], 2.0, -v[16:17]
	v_fma_f64 v[38:39], v[42:43], 2.0, -v[22:23]
	v_fma_f64 v[36:37], v[10:11], 2.0, -v[20:21]
	v_fma_f64 v[10:11], v[56:57], 2.0, -v[26:27]
	v_fma_f64 v[8:9], v[4:5], 2.0, -v[24:25]
	v_fma_f64 v[4:5], v[58:59], 2.0, -v[30:31]
	v_fma_f64 v[2:3], v[6:7], 2.0, -v[28:29]
	v_fma_f64 v[42:43], v[48:49], 2.0, -v[14:15]
	v_fma_f64 v[40:41], v[0:1], 2.0, -v[12:13]
	v_lshlrev_b64_e32 v[0:1], 4, v[88:89]
	v_lshlrev_b64_e32 v[6:7], 4, v[90:91]
	;; [unrolled: 1-line block ×4, first 2 shown]
	v_add_co_u32 v54, vcc_lo, v72, v64
	s_wait_alu 0xfffd
	v_add_co_ci_u32_e32 v55, vcc_lo, v73, v65, vcc_lo
	v_add_co_u32 v0, vcc_lo, v72, v0
	s_wait_alu 0xfffd
	v_add_co_ci_u32_e32 v1, vcc_lo, v73, v1, vcc_lo
	;; [unrolled: 3-line block ×6, first 2 shown]
	s_clause 0x9
	global_store_b128 v[46:47], v[32:35], off
	global_store_b128 v[60:61], v[16:19], off
	global_store_b128 v[50:51], v[36:39], off
	global_store_b128 v[62:63], v[20:23], off
	global_store_b128 v[54:55], v[8:11], off
	global_store_b128 v[44:45], v[24:27], off
	global_store_b128 v[0:1], v[2:5], off
	global_store_b128 v[48:49], v[28:31], off
	global_store_b128 v[6:7], v[40:43], off
	global_store_b128 v[52:53], v[12:15], off
.LBB0_25:
	s_nop 0
	s_sendmsg sendmsg(MSG_DEALLOC_VGPRS)
	s_endpgm
	.section	.rodata,"a",@progbits
	.p2align	6, 0x0
	.amdhsa_kernel fft_rtc_fwd_len1540_factors_11_2_7_5_2_wgs_154_tpt_154_halfLds_dp_op_CI_CI_sbrr_dirReg
		.amdhsa_group_segment_fixed_size 0
		.amdhsa_private_segment_fixed_size 0
		.amdhsa_kernarg_size 104
		.amdhsa_user_sgpr_count 2
		.amdhsa_user_sgpr_dispatch_ptr 0
		.amdhsa_user_sgpr_queue_ptr 0
		.amdhsa_user_sgpr_kernarg_segment_ptr 1
		.amdhsa_user_sgpr_dispatch_id 0
		.amdhsa_user_sgpr_private_segment_size 0
		.amdhsa_wavefront_size32 1
		.amdhsa_uses_dynamic_stack 0
		.amdhsa_enable_private_segment 0
		.amdhsa_system_sgpr_workgroup_id_x 1
		.amdhsa_system_sgpr_workgroup_id_y 0
		.amdhsa_system_sgpr_workgroup_id_z 0
		.amdhsa_system_sgpr_workgroup_info 0
		.amdhsa_system_vgpr_workitem_id 0
		.amdhsa_next_free_vgpr 131
		.amdhsa_next_free_sgpr 43
		.amdhsa_reserve_vcc 1
		.amdhsa_float_round_mode_32 0
		.amdhsa_float_round_mode_16_64 0
		.amdhsa_float_denorm_mode_32 3
		.amdhsa_float_denorm_mode_16_64 3
		.amdhsa_fp16_overflow 0
		.amdhsa_workgroup_processor_mode 1
		.amdhsa_memory_ordered 1
		.amdhsa_forward_progress 0
		.amdhsa_round_robin_scheduling 0
		.amdhsa_exception_fp_ieee_invalid_op 0
		.amdhsa_exception_fp_denorm_src 0
		.amdhsa_exception_fp_ieee_div_zero 0
		.amdhsa_exception_fp_ieee_overflow 0
		.amdhsa_exception_fp_ieee_underflow 0
		.amdhsa_exception_fp_ieee_inexact 0
		.amdhsa_exception_int_div_zero 0
	.end_amdhsa_kernel
	.text
.Lfunc_end0:
	.size	fft_rtc_fwd_len1540_factors_11_2_7_5_2_wgs_154_tpt_154_halfLds_dp_op_CI_CI_sbrr_dirReg, .Lfunc_end0-fft_rtc_fwd_len1540_factors_11_2_7_5_2_wgs_154_tpt_154_halfLds_dp_op_CI_CI_sbrr_dirReg
                                        ; -- End function
	.section	.AMDGPU.csdata,"",@progbits
; Kernel info:
; codeLenInByte = 11172
; NumSgprs: 45
; NumVgprs: 131
; ScratchSize: 0
; MemoryBound: 1
; FloatMode: 240
; IeeeMode: 1
; LDSByteSize: 0 bytes/workgroup (compile time only)
; SGPRBlocks: 5
; VGPRBlocks: 16
; NumSGPRsForWavesPerEU: 45
; NumVGPRsForWavesPerEU: 131
; Occupancy: 10
; WaveLimiterHint : 1
; COMPUTE_PGM_RSRC2:SCRATCH_EN: 0
; COMPUTE_PGM_RSRC2:USER_SGPR: 2
; COMPUTE_PGM_RSRC2:TRAP_HANDLER: 0
; COMPUTE_PGM_RSRC2:TGID_X_EN: 1
; COMPUTE_PGM_RSRC2:TGID_Y_EN: 0
; COMPUTE_PGM_RSRC2:TGID_Z_EN: 0
; COMPUTE_PGM_RSRC2:TIDIG_COMP_CNT: 0
	.text
	.p2alignl 7, 3214868480
	.fill 96, 4, 3214868480
	.type	__hip_cuid_e68e49e3c52fdf25,@object ; @__hip_cuid_e68e49e3c52fdf25
	.section	.bss,"aw",@nobits
	.globl	__hip_cuid_e68e49e3c52fdf25
__hip_cuid_e68e49e3c52fdf25:
	.byte	0                               ; 0x0
	.size	__hip_cuid_e68e49e3c52fdf25, 1

	.ident	"AMD clang version 19.0.0git (https://github.com/RadeonOpenCompute/llvm-project roc-6.4.0 25133 c7fe45cf4b819c5991fe208aaa96edf142730f1d)"
	.section	".note.GNU-stack","",@progbits
	.addrsig
	.addrsig_sym __hip_cuid_e68e49e3c52fdf25
	.amdgpu_metadata
---
amdhsa.kernels:
  - .args:
      - .actual_access:  read_only
        .address_space:  global
        .offset:         0
        .size:           8
        .value_kind:     global_buffer
      - .offset:         8
        .size:           8
        .value_kind:     by_value
      - .actual_access:  read_only
        .address_space:  global
        .offset:         16
        .size:           8
        .value_kind:     global_buffer
      - .actual_access:  read_only
        .address_space:  global
        .offset:         24
        .size:           8
        .value_kind:     global_buffer
      - .actual_access:  read_only
        .address_space:  global
        .offset:         32
        .size:           8
        .value_kind:     global_buffer
      - .offset:         40
        .size:           8
        .value_kind:     by_value
      - .actual_access:  read_only
        .address_space:  global
        .offset:         48
        .size:           8
        .value_kind:     global_buffer
      - .actual_access:  read_only
        .address_space:  global
        .offset:         56
        .size:           8
        .value_kind:     global_buffer
      - .offset:         64
        .size:           4
        .value_kind:     by_value
      - .actual_access:  read_only
        .address_space:  global
        .offset:         72
        .size:           8
        .value_kind:     global_buffer
      - .actual_access:  read_only
        .address_space:  global
        .offset:         80
        .size:           8
        .value_kind:     global_buffer
      - .actual_access:  read_only
        .address_space:  global
        .offset:         88
        .size:           8
        .value_kind:     global_buffer
      - .actual_access:  write_only
        .address_space:  global
        .offset:         96
        .size:           8
        .value_kind:     global_buffer
    .group_segment_fixed_size: 0
    .kernarg_segment_align: 8
    .kernarg_segment_size: 104
    .language:       OpenCL C
    .language_version:
      - 2
      - 0
    .max_flat_workgroup_size: 154
    .name:           fft_rtc_fwd_len1540_factors_11_2_7_5_2_wgs_154_tpt_154_halfLds_dp_op_CI_CI_sbrr_dirReg
    .private_segment_fixed_size: 0
    .sgpr_count:     45
    .sgpr_spill_count: 0
    .symbol:         fft_rtc_fwd_len1540_factors_11_2_7_5_2_wgs_154_tpt_154_halfLds_dp_op_CI_CI_sbrr_dirReg.kd
    .uniform_work_group_size: 1
    .uses_dynamic_stack: false
    .vgpr_count:     131
    .vgpr_spill_count: 0
    .wavefront_size: 32
    .workgroup_processor_mode: 1
amdhsa.target:   amdgcn-amd-amdhsa--gfx1201
amdhsa.version:
  - 1
  - 2
...

	.end_amdgpu_metadata
